;; amdgpu-corpus repo=ROCm/rocFFT kind=compiled arch=gfx950 opt=O3
	.text
	.amdgcn_target "amdgcn-amd-amdhsa--gfx950"
	.amdhsa_code_object_version 6
	.protected	bluestein_single_fwd_len289_dim1_dp_op_CI_CI ; -- Begin function bluestein_single_fwd_len289_dim1_dp_op_CI_CI
	.globl	bluestein_single_fwd_len289_dim1_dp_op_CI_CI
	.p2align	8
	.type	bluestein_single_fwd_len289_dim1_dp_op_CI_CI,@function
bluestein_single_fwd_len289_dim1_dp_op_CI_CI: ; @bluestein_single_fwd_len289_dim1_dp_op_CI_CI
; %bb.0:
	s_load_dwordx4 s[4:7], s[0:1], 0x28
	v_mul_u32_u24_e32 v1, 0xf10, v0
	v_lshrrev_b32_e32 v2, 16, v1
	v_mad_u64_u32 v[112:113], s[2:3], s2, 7, v[2:3]
	v_mov_b32_e32 v113, 0
	s_waitcnt lgkmcnt(0)
	v_cmp_gt_u64_e32 vcc, s[4:5], v[112:113]
	s_and_saveexec_b64 s[2:3], vcc
	s_cbranch_execz .LBB0_2
; %bb.1:
	s_load_dwordx4 s[8:11], s[0:1], 0x0
	s_load_dwordx4 s[12:15], s[0:1], 0x18
	s_mov_b32 s2, 0x24924925
	v_mov_b32_e32 v4, s6
	v_mov_b32_e32 v5, s7
	v_mul_hi_u32 v1, v112, s2
	s_waitcnt lgkmcnt(0)
	s_load_dwordx4 s[4:7], s[14:15], 0x0
	v_sub_u32_e32 v3, v112, v1
	v_lshrrev_b32_e32 v3, 1, v3
	s_load_dwordx4 s[12:15], s[12:13], 0x0
	v_add_u32_e32 v1, v3, v1
	v_lshrrev_b32_e32 v1, 2, v1
	v_mul_lo_u32 v1, v1, 7
	s_waitcnt lgkmcnt(0)
	v_mad_u64_u32 v[196:197], s[2:3], s6, v112, 0
	v_sub_u32_e32 v10, v112, v1
	v_mov_b32_e32 v6, v197
	v_mul_lo_u16_e32 v1, 17, v2
	v_mad_u64_u32 v[198:199], s[2:3], s7, v112, v[6:7]
	v_mad_u64_u32 v[6:7], s[2:3], s14, v112, 0
	v_sub_u16_e32 v238, v0, v1
	v_mov_b32_e32 v8, v7
	v_mad_u64_u32 v[0:1], s[2:3], s12, v238, 0
	v_mad_u64_u32 v[8:9], s[2:3], s15, v112, v[8:9]
	v_mov_b32_e32 v2, v1
	v_mov_b32_e32 v7, v8
	v_mad_u64_u32 v[2:3], s[2:3], s13, v238, v[2:3]
	v_mov_b32_e32 v1, v2
	v_lshl_add_u64 v[2:3], v[6:7], 4, v[4:5]
	v_lshl_add_u64 v[0:1], v[0:1], 4, v[2:3]
	v_mov_b32_e32 v199, 0x110
	s_mul_i32 s2, s13, 0x110
	v_mad_u64_u32 v[32:33], s[6:7], s12, v199, v[0:1]
	v_lshlrev_b32_e32 v112, 4, v238
	v_mul_u32_u24_e32 v2, 0x121, v10
	v_add_u32_e32 v33, s2, v33
	global_load_dwordx4 v[68:71], v[0:1], off
	global_load_dwordx4 v[28:31], v112, s[8:9]
	v_lshlrev_b32_e32 v156, 4, v2
	global_load_dwordx4 v[48:51], v112, s[8:9] offset:272
	global_load_dwordx4 v[20:23], v112, s[8:9] offset:544
	;; [unrolled: 1-line block ×7, first 2 shown]
	global_load_dwordx4 v[72:75], v[32:33], off
	global_load_dwordx4 v[0:3], v112, s[8:9] offset:2176
	global_load_dwordx4 v[8:11], v112, s[8:9] offset:2448
	v_mad_u64_u32 v[32:33], s[6:7], s12, v199, v[32:33]
	v_add_u32_e32 v33, s2, v33
	global_load_dwordx4 v[76:79], v[32:33], off
	v_mad_u64_u32 v[32:33], s[6:7], s12, v199, v[32:33]
	v_add_u32_e32 v33, s2, v33
	global_load_dwordx4 v[108:111], v[32:33], off
	;; [unrolled: 3-line block ×10, first 2 shown]
	v_mad_u64_u32 v[32:33], s[6:7], s12, v199, v[32:33]
	global_load_dwordx4 v[64:67], v112, s[8:9] offset:2720
	global_load_dwordx4 v[56:59], v112, s[8:9] offset:2992
	v_add_u32_e32 v33, s2, v33
	global_load_dwordx4 v[122:125], v[32:33], off
	v_mad_u64_u32 v[32:33], s[6:7], s12, v199, v[32:33]
	v_add_u32_e32 v33, s2, v33
	global_load_dwordx4 v[126:129], v[32:33], off
	global_load_dwordx4 v[60:63], v112, s[8:9] offset:3264
	global_load_dwordx4 v[44:47], v112, s[8:9] offset:3536
	v_mad_u64_u32 v[32:33], s[6:7], s12, v199, v[32:33]
	v_add_u32_e32 v33, s2, v33
	v_mad_u64_u32 v[36:37], s[6:7], s12, v199, v[32:33]
	v_add_u32_e32 v37, s2, v37
	global_load_dwordx4 v[130:133], v[32:33], off
	global_load_dwordx4 v[134:137], v[36:37], off
	global_load_dwordx4 v[52:55], v112, s[8:9] offset:3808
	s_nop 0
	global_load_dwordx4 v[32:35], v112, s[8:9] offset:4080
	v_mad_u64_u32 v[36:37], s[6:7], s12, v199, v[36:37]
	v_lshl_add_u64 v[184:185], s[8:9], 0, v[112:113]
	v_add_u32_e32 v37, s2, v37
	s_movk_i32 s2, 0x1000
	v_add_co_u32_e32 v176, vcc, s2, v184
	global_load_dwordx4 v[138:141], v[36:37], off
	s_nop 0
	v_addc_co_u32_e32 v177, vcc, 0, v185, vcc
	global_load_dwordx4 v[36:39], v[176:177], off offset:256
	v_add_u32_e32 v239, v112, v156
	s_mov_b32 s22, 0x5d8e7cdc
	s_mov_b32 s18, 0x2a9d6da3
	;; [unrolled: 1-line block ×7, first 2 shown]
	s_waitcnt vmcnt(32)
	v_mul_f64 v[118:119], v[70:71], v[30:31]
	v_fmac_f64_e32 v[118:119], v[68:69], v[28:29]
	v_mul_f64 v[68:69], v[68:69], v[30:31]
	v_fma_f64 v[120:121], v[70:71], v[28:29], -v[68:69]
	s_waitcnt vmcnt(24)
	v_mul_f64 v[68:69], v[74:75], v[50:51]
	v_mul_f64 v[70:71], v[72:73], v[50:51]
	v_fmac_f64_e32 v[68:69], v[72:73], v[48:49]
	v_fma_f64 v[70:71], v[74:75], v[48:49], -v[70:71]
	ds_write_b128 v239, v[68:71] offset:272
	s_waitcnt vmcnt(21)
	v_mul_f64 v[68:69], v[78:79], v[22:23]
	v_mul_f64 v[70:71], v[76:77], v[22:23]
	v_fmac_f64_e32 v[68:69], v[76:77], v[20:21]
	v_fma_f64 v[70:71], v[78:79], v[20:21], -v[70:71]
	ds_write_b128 v239, v[68:71] offset:544
	;; [unrolled: 6-line block ×15, first 2 shown]
	s_waitcnt vmcnt(0)
	v_mul_f64 v[68:69], v[140:141], v[38:39]
	v_mul_f64 v[70:71], v[138:139], v[38:39]
	v_fmac_f64_e32 v[68:69], v[138:139], v[36:37]
	v_fma_f64 v[70:71], v[140:141], v[36:37], -v[70:71]
	ds_write_b128 v239, v[118:121]
	ds_write_b128 v239, v[68:71] offset:4352
	s_waitcnt lgkmcnt(0)
	s_barrier
	ds_read_b128 v[128:131], v239
	ds_read_b128 v[132:135], v239 offset:272
	ds_read_b128 v[120:123], v239 offset:544
	;; [unrolled: 1-line block ×16, first 2 shown]
	s_waitcnt lgkmcnt(14)
	v_add_f64 v[68:69], v[128:129], v[132:133]
	v_add_f64 v[70:71], v[130:131], v[134:135]
	;; [unrolled: 1-line block ×4, first 2 shown]
	s_waitcnt lgkmcnt(13)
	v_add_f64 v[68:69], v[68:69], v[112:113]
	v_add_f64 v[70:71], v[70:71], v[114:115]
	s_waitcnt lgkmcnt(12)
	v_add_f64 v[68:69], v[68:69], v[104:105]
	v_add_f64 v[70:71], v[70:71], v[106:107]
	s_waitcnt lgkmcnt(11)
	v_add_f64 v[68:69], v[68:69], v[96:97]
	v_add_f64 v[70:71], v[70:71], v[98:99]
	s_waitcnt lgkmcnt(10)
	v_add_f64 v[68:69], v[68:69], v[88:89]
	v_add_f64 v[70:71], v[70:71], v[90:91]
	s_waitcnt lgkmcnt(9)
	v_add_f64 v[68:69], v[68:69], v[80:81]
	v_add_f64 v[70:71], v[70:71], v[82:83]
	s_waitcnt lgkmcnt(8)
	v_add_f64 v[68:69], v[68:69], v[72:73]
	v_add_f64 v[70:71], v[70:71], v[74:75]
	s_waitcnt lgkmcnt(7)
	v_add_f64 v[68:69], v[68:69], v[76:77]
	v_add_f64 v[70:71], v[70:71], v[78:79]
	s_waitcnt lgkmcnt(6)
	v_add_f64 v[68:69], v[68:69], v[84:85]
	v_add_f64 v[70:71], v[70:71], v[86:87]
	s_waitcnt lgkmcnt(5)
	v_add_f64 v[68:69], v[68:69], v[92:93]
	v_add_f64 v[70:71], v[70:71], v[94:95]
	s_waitcnt lgkmcnt(4)
	v_add_f64 v[68:69], v[68:69], v[100:101]
	v_add_f64 v[70:71], v[70:71], v[102:103]
	s_waitcnt lgkmcnt(3)
	v_add_f64 v[68:69], v[68:69], v[108:109]
	v_add_f64 v[70:71], v[70:71], v[110:111]
	s_waitcnt lgkmcnt(2)
	v_add_f64 v[68:69], v[68:69], v[116:117]
	s_mov_b32 s36, 0xacd6c6b4
	v_add_f64 v[70:71], v[70:71], v[118:119]
	s_waitcnt lgkmcnt(1)
	v_add_f64 v[68:69], v[68:69], v[124:125]
	s_waitcnt lgkmcnt(0)
	v_add_f64 v[142:143], v[134:135], v[138:139]
	v_add_f64 v[134:135], v[134:135], -v[138:139]
	s_mov_b32 s23, 0xbfd71e95
	s_mov_b32 s24, 0x370991
	;; [unrolled: 1-line block ×16, first 2 shown]
	v_add_f64 v[70:71], v[70:71], v[126:127]
	v_add_f64 v[68:69], v[68:69], v[136:137]
	;; [unrolled: 1-line block ×3, first 2 shown]
	v_add_f64 v[132:133], v[132:133], -v[136:137]
	v_mul_f64 v[136:137], v[134:135], s[22:23]
	s_mov_b32 s25, 0x3fedd6d0
	v_mul_f64 v[148:149], v[134:135], s[18:19]
	s_mov_b32 s21, 0x3fe7a5f6
	;; [unrolled: 2-line block ×8, first 2 shown]
	v_add_f64 v[70:71], v[70:71], v[138:139]
	v_fma_f64 v[138:139], v[140:141], s[24:25], -v[136:137]
	v_mul_f64 v[144:145], v[132:133], s[22:23]
	v_fmac_f64_e32 v[136:137], s[24:25], v[140:141]
	v_fma_f64 v[150:151], v[140:141], s[20:21], -v[148:149]
	v_mul_f64 v[152:153], v[132:133], s[18:19]
	v_fmac_f64_e32 v[148:149], s[20:21], v[140:141]
	;; [unrolled: 3-line block ×8, first 2 shown]
	v_add_f64 v[138:139], v[128:129], v[138:139]
	v_fma_f64 v[146:147], s[24:25], v[142:143], v[144:145]
	v_add_f64 v[136:137], v[128:129], v[136:137]
	v_fma_f64 v[144:145], v[142:143], s[24:25], -v[144:145]
	v_add_f64 v[150:151], v[128:129], v[150:151]
	v_fma_f64 v[154:155], s[20:21], v[142:143], v[152:153]
	v_add_f64 v[148:149], v[128:129], v[148:149]
	v_fma_f64 v[152:153], v[142:143], s[20:21], -v[152:153]
	;; [unrolled: 4-line block ×8, first 2 shown]
	v_add_f64 v[134:135], v[122:123], v[126:127]
	v_add_f64 v[122:123], v[122:123], -v[126:127]
	v_add_f64 v[146:147], v[130:131], v[146:147]
	v_add_f64 v[144:145], v[130:131], v[144:145]
	v_add_f64 v[154:155], v[130:131], v[154:155]
	v_add_f64 v[152:153], v[130:131], v[152:153]
	v_add_f64 v[164:165], v[130:131], v[164:165]
	v_add_f64 v[162:163], v[130:131], v[162:163]
	v_add_f64 v[172:173], v[130:131], v[172:173]
	v_add_f64 v[170:171], v[130:131], v[170:171]
	v_add_f64 v[182:183], v[130:131], v[182:183]
	v_add_f64 v[180:181], v[130:131], v[180:181]
	v_add_f64 v[192:193], v[130:131], v[192:193]
	v_add_f64 v[190:191], v[130:131], v[190:191]
	v_add_f64 v[204:205], v[130:131], v[204:205]
	v_add_f64 v[202:203], v[130:131], v[202:203]
	v_add_f64 v[208:209], v[130:131], v[208:209]
	v_add_f64 v[130:131], v[130:131], v[132:133]
	v_add_f64 v[132:133], v[120:121], v[124:125]
	v_add_f64 v[120:121], v[120:121], -v[124:125]
	v_mul_f64 v[124:125], v[122:123], s[18:19]
	v_fma_f64 v[126:127], v[132:133], s[20:21], -v[124:125]
	v_add_f64 v[126:127], v[126:127], v[138:139]
	v_mul_f64 v[138:139], v[120:121], s[18:19]
	v_fmac_f64_e32 v[124:125], s[20:21], v[132:133]
	v_fma_f64 v[140:141], s[20:21], v[134:135], v[138:139]
	v_add_f64 v[124:125], v[124:125], v[136:137]
	v_fma_f64 v[136:137], v[134:135], s[20:21], -v[138:139]
	v_mul_f64 v[138:139], v[122:123], s[6:7]
	v_add_f64 v[136:137], v[136:137], v[144:145]
	v_fma_f64 v[142:143], v[132:133], s[2:3], -v[138:139]
	v_mul_f64 v[144:145], v[120:121], s[6:7]
	v_fmac_f64_e32 v[138:139], s[2:3], v[132:133]
	v_add_f64 v[140:141], v[140:141], v[146:147]
	v_fma_f64 v[146:147], s[2:3], v[134:135], v[144:145]
	v_add_f64 v[138:139], v[138:139], v[148:149]
	v_fma_f64 v[144:145], v[134:135], s[2:3], -v[144:145]
	v_mul_f64 v[148:149], v[122:123], s[26:27]
	v_add_f64 v[142:143], v[142:143], v[150:151]
	v_add_f64 v[144:145], v[144:145], v[152:153]
	v_fma_f64 v[150:151], v[132:133], s[28:29], -v[148:149]
	v_mul_f64 v[152:153], v[120:121], s[26:27]
	v_fmac_f64_e32 v[148:149], s[28:29], v[132:133]
	v_add_f64 v[146:147], v[146:147], v[154:155]
	v_fma_f64 v[154:155], s[28:29], v[134:135], v[152:153]
	v_add_f64 v[148:149], v[148:149], v[158:159]
	v_fma_f64 v[152:153], v[134:135], s[28:29], -v[152:153]
	v_mul_f64 v[158:159], v[122:123], s[36:37]
	v_add_f64 v[150:151], v[150:151], v[160:161]
	v_add_f64 v[152:153], v[152:153], v[162:163]
	v_fma_f64 v[160:161], v[132:133], s[38:39], -v[158:159]
	v_mul_f64 v[162:163], v[120:121], s[36:37]
	v_fmac_f64_e32 v[158:159], s[38:39], v[132:133]
	s_mov_b32 s45, 0x3fe0d888
	s_mov_b32 s44, s30
	v_add_f64 v[154:155], v[154:155], v[164:165]
	v_fma_f64 v[164:165], s[38:39], v[134:135], v[162:163]
	v_add_f64 v[158:159], v[158:159], v[166:167]
	v_fma_f64 v[162:163], v[134:135], s[38:39], -v[162:163]
	v_mul_f64 v[166:167], v[122:123], s[44:45]
	v_add_f64 v[160:161], v[160:161], v[168:169]
	v_add_f64 v[162:163], v[162:163], v[170:171]
	v_fma_f64 v[168:169], v[132:133], s[34:35], -v[166:167]
	v_mul_f64 v[170:171], v[120:121], s[44:45]
	v_fmac_f64_e32 v[166:167], s[34:35], v[132:133]
	s_mov_b32 s41, 0x3feec746
	s_mov_b32 s40, s8
	;; [unrolled: 12-line block ×3, first 2 shown]
	v_add_f64 v[172:173], v[172:173], v[182:183]
	v_fma_f64 v[182:183], s[16:17], v[134:135], v[180:181]
	v_add_f64 v[174:175], v[174:175], v[186:187]
	v_fma_f64 v[180:181], v[134:135], s[16:17], -v[180:181]
	v_mul_f64 v[186:187], v[122:123], s[42:43]
	s_mov_b32 s47, 0x3fd71e95
	s_mov_b32 s46, s22
	v_add_f64 v[178:179], v[178:179], v[188:189]
	v_add_f64 v[180:181], v[180:181], v[190:191]
	v_fma_f64 v[188:189], v[132:133], s[12:13], -v[186:187]
	v_mul_f64 v[190:191], v[120:121], s[42:43]
	v_mul_f64 v[120:121], v[120:121], s[46:47]
	v_add_f64 v[188:189], v[188:189], v[200:201]
	v_fmac_f64_e32 v[186:187], s[12:13], v[132:133]
	v_mul_f64 v[122:123], v[122:123], s[46:47]
	v_fma_f64 v[200:201], s[24:25], v[134:135], v[120:121]
	v_fma_f64 v[120:121], v[134:135], s[24:25], -v[120:121]
	v_add_f64 v[186:187], v[186:187], v[194:195]
	v_fma_f64 v[194:195], v[132:133], s[24:25], -v[122:123]
	v_fmac_f64_e32 v[122:123], s[24:25], v[132:133]
	v_add_f64 v[120:121], v[120:121], v[130:131]
	v_add_f64 v[130:131], v[114:115], v[118:119]
	v_add_f64 v[114:115], v[114:115], -v[118:119]
	v_add_f64 v[122:123], v[122:123], v[128:129]
	v_add_f64 v[128:129], v[112:113], v[116:117]
	v_add_f64 v[112:113], v[112:113], -v[116:117]
	v_mul_f64 v[116:117], v[114:115], s[14:15]
	v_fma_f64 v[118:119], v[128:129], s[12:13], -v[116:117]
	v_add_f64 v[118:119], v[118:119], v[126:127]
	v_mul_f64 v[126:127], v[112:113], s[14:15]
	v_fmac_f64_e32 v[116:117], s[12:13], v[128:129]
	v_fma_f64 v[132:133], s[12:13], v[130:131], v[126:127]
	v_add_f64 v[116:117], v[116:117], v[124:125]
	v_fma_f64 v[124:125], v[130:131], s[12:13], -v[126:127]
	v_mul_f64 v[126:127], v[114:115], s[26:27]
	v_add_f64 v[182:183], v[182:183], v[192:193]
	v_fma_f64 v[192:193], s[12:13], v[134:135], v[190:191]
	v_fma_f64 v[190:191], v[134:135], s[12:13], -v[190:191]
	v_fma_f64 v[134:135], v[128:129], s[28:29], -v[126:127]
	v_fmac_f64_e32 v[126:127], s[28:29], v[128:129]
	s_mov_b32 s51, 0x3fc7851a
	s_mov_b32 s50, s36
	v_add_f64 v[124:125], v[124:125], v[136:137]
	v_mul_f64 v[136:137], v[112:113], s[26:27]
	v_add_f64 v[126:127], v[126:127], v[138:139]
	v_mul_f64 v[138:139], v[114:115], s[50:51]
	v_add_f64 v[132:133], v[132:133], v[140:141]
	v_add_f64 v[134:135], v[134:135], v[142:143]
	v_fma_f64 v[140:141], s[28:29], v[130:131], v[136:137]
	v_fma_f64 v[136:137], v[130:131], s[28:29], -v[136:137]
	v_fma_f64 v[142:143], v[128:129], s[38:39], -v[138:139]
	v_fmac_f64_e32 v[138:139], s[38:39], v[128:129]
	v_add_f64 v[136:137], v[136:137], v[144:145]
	v_mul_f64 v[144:145], v[112:113], s[50:51]
	v_add_f64 v[138:139], v[138:139], v[148:149]
	v_mul_f64 v[148:149], v[114:115], s[40:41]
	v_add_f64 v[140:141], v[140:141], v[146:147]
	v_add_f64 v[142:143], v[142:143], v[150:151]
	v_fma_f64 v[146:147], s[38:39], v[130:131], v[144:145]
	v_fma_f64 v[144:145], v[130:131], s[38:39], -v[144:145]
	v_fma_f64 v[150:151], v[128:129], s[16:17], -v[148:149]
	v_fmac_f64_e32 v[148:149], s[16:17], v[128:129]
	s_mov_b32 s49, 0x3fe58eea
	s_mov_b32 s48, s18
	v_add_f64 v[144:145], v[144:145], v[152:153]
	v_mul_f64 v[152:153], v[112:113], s[40:41]
	v_add_f64 v[148:149], v[148:149], v[158:159]
	v_mul_f64 v[158:159], v[114:115], s[48:49]
	v_add_f64 v[146:147], v[146:147], v[154:155]
	v_add_f64 v[150:151], v[150:151], v[160:161]
	v_fma_f64 v[154:155], s[16:17], v[130:131], v[152:153]
	v_fma_f64 v[152:153], v[130:131], s[16:17], -v[152:153]
	v_fma_f64 v[160:161], v[128:129], s[20:21], -v[158:159]
	v_fmac_f64_e32 v[158:159], s[20:21], v[128:129]
	v_add_f64 v[152:153], v[152:153], v[162:163]
	v_mul_f64 v[162:163], v[112:113], s[48:49]
	v_add_f64 v[158:159], v[158:159], v[166:167]
	v_mul_f64 v[166:167], v[114:115], s[22:23]
	v_add_f64 v[154:155], v[154:155], v[164:165]
	v_add_f64 v[160:161], v[160:161], v[168:169]
	v_fma_f64 v[164:165], s[20:21], v[130:131], v[162:163]
	v_fma_f64 v[162:163], v[130:131], s[20:21], -v[162:163]
	v_fma_f64 v[168:169], v[128:129], s[24:25], -v[166:167]
	v_fmac_f64_e32 v[166:167], s[24:25], v[128:129]
	;; [unrolled: 10-line block ×3, first 2 shown]
	v_mul_f64 v[114:115], v[114:115], s[30:31]
	v_add_f64 v[170:171], v[170:171], v[180:181]
	v_mul_f64 v[180:181], v[112:113], s[6:7]
	v_add_f64 v[174:175], v[174:175], v[186:187]
	v_fma_f64 v[186:187], v[128:129], s[34:35], -v[114:115]
	v_mul_f64 v[112:113], v[112:113], s[30:31]
	v_fmac_f64_e32 v[114:115], s[34:35], v[128:129]
	v_add_f64 v[178:179], v[178:179], v[188:189]
	v_fma_f64 v[188:189], s[34:35], v[130:131], v[112:113]
	v_add_f64 v[114:115], v[114:115], v[122:123]
	v_fma_f64 v[112:113], v[130:131], s[34:35], -v[112:113]
	v_add_f64 v[122:123], v[106:107], v[110:111]
	v_add_f64 v[106:107], v[106:107], -v[110:111]
	v_add_f64 v[112:113], v[112:113], v[120:121]
	v_add_f64 v[120:121], v[104:105], v[108:109]
	v_add_f64 v[104:105], v[104:105], -v[108:109]
	v_mul_f64 v[108:109], v[106:107], s[6:7]
	v_fma_f64 v[110:111], v[120:121], s[2:3], -v[108:109]
	v_add_f64 v[110:111], v[110:111], v[118:119]
	v_mul_f64 v[118:119], v[104:105], s[6:7]
	v_fmac_f64_e32 v[108:109], s[2:3], v[120:121]
	v_fma_f64 v[128:129], s[2:3], v[122:123], v[118:119]
	v_add_f64 v[108:109], v[108:109], v[116:117]
	v_fma_f64 v[116:117], v[122:123], s[2:3], -v[118:119]
	v_mul_f64 v[118:119], v[106:107], s[36:37]
	v_add_f64 v[172:173], v[172:173], v[182:183]
	v_fma_f64 v[182:183], s[2:3], v[130:131], v[180:181]
	v_fma_f64 v[180:181], v[130:131], s[2:3], -v[180:181]
	v_add_f64 v[116:117], v[116:117], v[124:125]
	v_fma_f64 v[124:125], v[120:121], s[38:39], -v[118:119]
	v_mul_f64 v[130:131], v[104:105], s[36:37]
	v_fmac_f64_e32 v[118:119], s[38:39], v[120:121]
	v_add_f64 v[128:129], v[128:129], v[132:133]
	v_fma_f64 v[132:133], s[38:39], v[122:123], v[130:131]
	v_add_f64 v[118:119], v[118:119], v[126:127]
	v_fma_f64 v[126:127], v[122:123], s[38:39], -v[130:131]
	v_mul_f64 v[130:131], v[106:107], s[40:41]
	v_add_f64 v[124:125], v[124:125], v[134:135]
	v_fma_f64 v[134:135], v[120:121], s[16:17], -v[130:131]
	v_fmac_f64_e32 v[130:131], s[16:17], v[120:121]
	v_add_f64 v[126:127], v[126:127], v[136:137]
	v_mul_f64 v[136:137], v[104:105], s[40:41]
	v_add_f64 v[130:131], v[130:131], v[138:139]
	v_mul_f64 v[138:139], v[106:107], s[46:47]
	v_add_f64 v[132:133], v[132:133], v[140:141]
	v_add_f64 v[134:135], v[134:135], v[142:143]
	v_fma_f64 v[140:141], s[16:17], v[122:123], v[136:137]
	v_fma_f64 v[136:137], v[122:123], s[16:17], -v[136:137]
	v_fma_f64 v[142:143], v[120:121], s[24:25], -v[138:139]
	v_fmac_f64_e32 v[138:139], s[24:25], v[120:121]
	v_add_f64 v[136:137], v[136:137], v[144:145]
	v_mul_f64 v[144:145], v[104:105], s[46:47]
	v_add_f64 v[138:139], v[138:139], v[148:149]
	v_mul_f64 v[148:149], v[106:107], s[14:15]
	v_add_f64 v[140:141], v[140:141], v[146:147]
	v_add_f64 v[142:143], v[142:143], v[150:151]
	v_fma_f64 v[146:147], s[24:25], v[122:123], v[144:145]
	v_fma_f64 v[144:145], v[122:123], s[24:25], -v[144:145]
	;; [unrolled: 10-line block ×3, first 2 shown]
	v_fma_f64 v[160:161], v[120:121], s[34:35], -v[158:159]
	v_fmac_f64_e32 v[158:159], s[34:35], v[120:121]
	s_mov_b32 s53, 0x3fe9895b
	s_mov_b32 s52, s26
	v_add_f64 v[152:153], v[152:153], v[162:163]
	v_mul_f64 v[162:163], v[104:105], s[30:31]
	v_add_f64 v[158:159], v[158:159], v[166:167]
	v_mul_f64 v[166:167], v[106:107], s[52:53]
	v_add_f64 v[154:155], v[154:155], v[164:165]
	v_add_f64 v[160:161], v[160:161], v[168:169]
	v_fma_f64 v[164:165], s[34:35], v[122:123], v[162:163]
	v_fma_f64 v[162:163], v[122:123], s[34:35], -v[162:163]
	v_fma_f64 v[168:169], v[120:121], s[28:29], -v[166:167]
	v_fmac_f64_e32 v[166:167], s[28:29], v[120:121]
	v_mul_f64 v[106:107], v[106:107], s[48:49]
	v_add_f64 v[162:163], v[162:163], v[170:171]
	v_mul_f64 v[170:171], v[104:105], s[52:53]
	v_add_f64 v[166:167], v[166:167], v[174:175]
	v_fma_f64 v[174:175], v[120:121], s[20:21], -v[106:107]
	v_mul_f64 v[104:105], v[104:105], s[48:49]
	v_fmac_f64_e32 v[106:107], s[20:21], v[120:121]
	v_add_f64 v[168:169], v[168:169], v[178:179]
	v_fma_f64 v[178:179], s[20:21], v[122:123], v[104:105]
	v_add_f64 v[106:107], v[106:107], v[114:115]
	v_fma_f64 v[104:105], v[122:123], s[20:21], -v[104:105]
	v_add_f64 v[114:115], v[98:99], v[102:103]
	v_add_f64 v[98:99], v[98:99], -v[102:103]
	v_add_f64 v[104:105], v[104:105], v[112:113]
	v_add_f64 v[112:113], v[96:97], v[100:101]
	v_add_f64 v[96:97], v[96:97], -v[100:101]
	v_mul_f64 v[100:101], v[98:99], s[8:9]
	v_fma_f64 v[102:103], v[112:113], s[16:17], -v[100:101]
	v_add_f64 v[102:103], v[102:103], v[110:111]
	v_mul_f64 v[110:111], v[96:97], s[8:9]
	v_fmac_f64_e32 v[100:101], s[16:17], v[112:113]
	v_fma_f64 v[120:121], s[16:17], v[114:115], v[110:111]
	v_add_f64 v[100:101], v[100:101], v[108:109]
	v_fma_f64 v[108:109], v[114:115], s[16:17], -v[110:111]
	v_mul_f64 v[110:111], v[98:99], s[44:45]
	v_add_f64 v[164:165], v[164:165], v[172:173]
	v_fma_f64 v[172:173], s[28:29], v[122:123], v[170:171]
	v_fma_f64 v[170:171], v[122:123], s[28:29], -v[170:171]
	v_add_f64 v[108:109], v[108:109], v[116:117]
	v_fma_f64 v[116:117], v[112:113], s[34:35], -v[110:111]
	v_mul_f64 v[122:123], v[96:97], s[44:45]
	v_fmac_f64_e32 v[110:111], s[34:35], v[112:113]
	v_add_f64 v[116:117], v[116:117], v[124:125]
	v_fma_f64 v[124:125], s[34:35], v[114:115], v[122:123]
	v_add_f64 v[110:111], v[110:111], v[118:119]
	v_fma_f64 v[118:119], v[114:115], s[34:35], -v[122:123]
	v_mul_f64 v[122:123], v[98:99], s[48:49]
	v_add_f64 v[190:191], v[190:191], v[202:203]
	v_add_f64 v[120:121], v[120:121], v[128:129]
	;; [unrolled: 1-line block ×3, first 2 shown]
	v_fma_f64 v[126:127], v[112:113], s[20:21], -v[122:123]
	v_mul_f64 v[128:129], v[96:97], s[48:49]
	v_fmac_f64_e32 v[122:123], s[20:21], v[112:113]
	v_add_f64 v[192:193], v[192:193], v[204:205]
	v_add_f64 v[180:181], v[180:181], v[190:191]
	;; [unrolled: 1-line block ×3, first 2 shown]
	v_fma_f64 v[132:133], s[20:21], v[114:115], v[128:129]
	v_add_f64 v[122:123], v[122:123], v[130:131]
	v_mul_f64 v[130:131], v[98:99], s[14:15]
	v_add_f64 v[200:201], v[200:201], v[208:209]
	v_add_f64 v[182:183], v[182:183], v[192:193]
	;; [unrolled: 1-line block ×4, first 2 shown]
	v_fma_f64 v[132:133], v[112:113], s[12:13], -v[130:131]
	v_add_f64 v[188:189], v[188:189], v[200:201]
	v_add_f64 v[172:173], v[172:173], v[182:183]
	;; [unrolled: 1-line block ×3, first 2 shown]
	v_mul_f64 v[132:133], v[96:97], s[14:15]
	v_fmac_f64_e32 v[130:131], s[12:13], v[112:113]
	v_add_f64 v[178:179], v[178:179], v[188:189]
	v_add_f64 v[188:189], v[130:131], v[138:139]
	v_fma_f64 v[130:131], v[114:115], s[12:13], -v[132:133]
	v_add_f64 v[190:191], v[130:131], v[144:145]
	v_mul_f64 v[130:131], v[98:99], s[36:37]
	v_add_f64 v[126:127], v[126:127], v[134:135]
	v_fma_f64 v[134:135], s[12:13], v[114:115], v[132:133]
	v_fma_f64 v[132:133], v[112:113], s[38:39], -v[130:131]
	v_add_f64 v[194:195], v[194:195], v[206:207]
	v_add_f64 v[192:193], v[132:133], v[150:151]
	v_mul_f64 v[132:133], v[96:97], s[36:37]
	v_fmac_f64_e32 v[130:131], s[38:39], v[112:113]
	v_add_f64 v[186:187], v[186:187], v[194:195]
	v_add_f64 v[194:195], v[130:131], v[148:149]
	v_fma_f64 v[130:131], v[114:115], s[38:39], -v[132:133]
	s_mov_b32 s55, 0x3fefdd0d
	s_mov_b32 s54, s6
	v_add_f64 v[152:153], v[130:131], v[152:153]
	v_mul_f64 v[130:131], v[98:99], s[54:55]
	v_add_f64 v[174:175], v[174:175], v[186:187]
	v_add_f64 v[186:187], v[134:135], v[146:147]
	v_fma_f64 v[134:135], s[38:39], v[114:115], v[132:133]
	v_fma_f64 v[132:133], v[112:113], s[2:3], -v[130:131]
	v_add_f64 v[160:161], v[132:133], v[160:161]
	v_mul_f64 v[132:133], v[96:97], s[54:55]
	v_fmac_f64_e32 v[130:131], s[2:3], v[112:113]
	v_add_f64 v[158:159], v[130:131], v[158:159]
	v_fma_f64 v[130:131], v[114:115], s[2:3], -v[132:133]
	v_add_f64 v[162:163], v[130:131], v[162:163]
	v_mul_f64 v[130:131], v[98:99], s[22:23]
	v_add_f64 v[206:207], v[90:91], v[94:95]
	v_add_f64 v[90:91], v[90:91], -v[94:95]
	v_add_f64 v[154:155], v[134:135], v[154:155]
	v_fma_f64 v[134:135], s[2:3], v[114:115], v[132:133]
	v_fma_f64 v[132:133], v[112:113], s[24:25], -v[130:131]
	v_add_f64 v[204:205], v[88:89], v[92:93]
	v_add_f64 v[88:89], v[88:89], -v[92:93]
	v_mul_f64 v[92:93], v[90:91], s[26:27]
	v_add_f64 v[168:169], v[132:133], v[168:169]
	v_mul_f64 v[132:133], v[96:97], s[22:23]
	v_fmac_f64_e32 v[130:131], s[24:25], v[112:113]
	v_fma_f64 v[94:95], v[204:205], s[28:29], -v[92:93]
	v_add_f64 v[166:167], v[130:131], v[166:167]
	v_fma_f64 v[130:131], v[114:115], s[24:25], -v[132:133]
	v_mul_f64 v[98:99], v[98:99], s[26:27]
	v_add_f64 v[148:149], v[94:95], v[102:103]
	v_mul_f64 v[94:95], v[88:89], s[26:27]
	v_fmac_f64_e32 v[92:93], s[28:29], v[204:205]
	v_add_f64 v[170:171], v[130:131], v[170:171]
	v_fma_f64 v[130:131], v[112:113], s[28:29], -v[98:99]
	v_mul_f64 v[96:97], v[96:97], s[26:27]
	v_add_f64 v[140:141], v[92:93], v[100:101]
	v_fma_f64 v[92:93], v[206:207], s[28:29], -v[94:95]
	v_add_f64 v[174:175], v[130:131], v[174:175]
	v_fma_f64 v[130:131], s[28:29], v[114:115], v[96:97]
	v_fma_f64 v[96:97], v[114:115], s[28:29], -v[96:97]
	v_add_f64 v[142:143], v[92:93], v[108:109]
	v_mul_f64 v[92:93], v[90:91], s[40:41]
	v_add_f64 v[202:203], v[96:97], v[104:105]
	v_fma_f64 v[96:97], s[28:29], v[206:207], v[94:95]
	v_fma_f64 v[94:95], v[204:205], s[16:17], -v[92:93]
	v_add_f64 v[144:145], v[94:95], v[116:117]
	v_mul_f64 v[94:95], v[88:89], s[40:41]
	v_fmac_f64_e32 v[92:93], s[16:17], v[204:205]
	v_add_f64 v[164:165], v[134:135], v[164:165]
	v_fma_f64 v[134:135], s[24:25], v[114:115], v[132:133]
	v_add_f64 v[132:133], v[92:93], v[110:111]
	v_fma_f64 v[92:93], v[206:207], s[16:17], -v[94:95]
	v_add_f64 v[172:173], v[134:135], v[172:173]
	v_add_f64 v[134:135], v[92:93], v[118:119]
	v_mul_f64 v[92:93], v[90:91], s[22:23]
	v_fma_f64 v[128:129], v[114:115], s[20:21], -v[128:129]
	v_add_f64 v[150:151], v[96:97], v[120:121]
	v_fma_f64 v[96:97], s[16:17], v[206:207], v[94:95]
	v_fma_f64 v[94:95], v[204:205], s[24:25], -v[92:93]
	v_add_f64 v[128:129], v[128:129], v[136:137]
	v_add_f64 v[136:137], v[94:95], v[126:127]
	v_mul_f64 v[94:95], v[88:89], s[22:23]
	v_fmac_f64_e32 v[92:93], s[24:25], v[204:205]
	v_add_f64 v[146:147], v[96:97], v[124:125]
	v_add_f64 v[124:125], v[92:93], v[122:123]
	v_fma_f64 v[92:93], v[206:207], s[24:25], -v[94:95]
	v_add_f64 v[126:127], v[92:93], v[128:129]
	v_mul_f64 v[92:93], v[90:91], s[30:31]
	v_fma_f64 v[96:97], s[24:25], v[206:207], v[94:95]
	v_fma_f64 v[94:95], v[204:205], s[34:35], -v[92:93]
	v_add_f64 v[128:129], v[94:95], v[182:183]
	v_mul_f64 v[94:95], v[88:89], s[30:31]
	v_fmac_f64_e32 v[92:93], s[34:35], v[204:205]
	v_add_f64 v[116:117], v[92:93], v[188:189]
	v_fma_f64 v[92:93], v[206:207], s[34:35], -v[94:95]
	v_add_f64 v[118:119], v[92:93], v[190:191]
	v_mul_f64 v[92:93], v[90:91], s[54:55]
	v_add_f64 v[138:139], v[96:97], v[180:181]
	v_fma_f64 v[96:97], s[34:35], v[206:207], v[94:95]
	v_fma_f64 v[94:95], v[204:205], s[2:3], -v[92:93]
	v_add_f64 v[120:121], v[94:95], v[192:193]
	v_mul_f64 v[94:95], v[88:89], s[54:55]
	v_fmac_f64_e32 v[92:93], s[2:3], v[204:205]
	v_add_f64 v[108:109], v[92:93], v[194:195]
	v_fma_f64 v[92:93], v[206:207], s[2:3], -v[94:95]
	v_add_f64 v[110:111], v[92:93], v[152:153]
	v_mul_f64 v[92:93], v[90:91], s[18:19]
	v_add_f64 v[178:179], v[130:131], v[178:179]
	v_add_f64 v[130:131], v[96:97], v[186:187]
	v_fma_f64 v[96:97], s[2:3], v[206:207], v[94:95]
	v_fma_f64 v[94:95], v[204:205], s[20:21], -v[92:93]
	v_fmac_f64_e32 v[98:99], s[28:29], v[112:113]
	v_add_f64 v[112:113], v[94:95], v[160:161]
	v_mul_f64 v[94:95], v[88:89], s[18:19]
	v_fmac_f64_e32 v[92:93], s[20:21], v[204:205]
	v_add_f64 v[100:101], v[92:93], v[158:159]
	v_fma_f64 v[92:93], v[206:207], s[20:21], -v[94:95]
	v_add_f64 v[102:103], v[92:93], v[162:163]
	v_mul_f64 v[92:93], v[90:91], s[36:37]
	v_add_f64 v[122:123], v[96:97], v[154:155]
	v_fma_f64 v[96:97], s[20:21], v[206:207], v[94:95]
	v_fma_f64 v[94:95], v[204:205], s[38:39], -v[92:93]
	v_add_f64 v[104:105], v[94:95], v[168:169]
	v_mul_f64 v[94:95], v[88:89], s[36:37]
	v_add_f64 v[114:115], v[96:97], v[164:165]
	v_fma_f64 v[96:97], s[38:39], v[206:207], v[94:95]
	v_mul_f64 v[90:91], v[90:91], s[42:43]
	v_mul_f64 v[152:153], v[88:89], s[42:43]
	v_add_f64 v[200:201], v[98:99], v[106:107]
	v_add_f64 v[106:107], v[96:97], v[172:173]
	v_fma_f64 v[96:97], v[204:205], s[12:13], -v[90:91]
	v_fma_f64 v[88:89], s[12:13], v[206:207], v[152:153]
	v_fmac_f64_e32 v[90:91], s[12:13], v[204:205]
	v_add_f64 v[98:99], v[88:89], v[178:179]
	v_add_f64 v[88:89], v[90:91], v[200:201]
	v_fma_f64 v[90:91], v[206:207], s[12:13], -v[152:153]
	v_add_f64 v[152:153], v[82:83], v[86:87]
	v_add_f64 v[82:83], v[82:83], -v[86:87]
	v_add_f64 v[154:155], v[80:81], v[84:85]
	v_add_f64 v[80:81], v[80:81], -v[84:85]
	v_mul_f64 v[84:85], v[82:83], s[30:31]
	v_fma_f64 v[86:87], v[154:155], s[34:35], -v[84:85]
	v_add_f64 v[86:87], v[86:87], v[148:149]
	v_mul_f64 v[148:149], v[80:81], s[30:31]
	v_fmac_f64_e32 v[84:85], s[34:35], v[154:155]
	v_add_f64 v[84:85], v[84:85], v[140:141]
	v_fma_f64 v[140:141], v[152:153], s[34:35], -v[148:149]
	v_add_f64 v[140:141], v[140:141], v[142:143]
	v_mul_f64 v[142:143], v[82:83], s[42:43]
	v_fma_f64 v[158:159], s[34:35], v[152:153], v[148:149]
	v_fma_f64 v[148:149], v[154:155], s[12:13], -v[142:143]
	v_add_f64 v[144:145], v[148:149], v[144:145]
	v_mul_f64 v[148:149], v[80:81], s[42:43]
	v_fmac_f64_e32 v[142:143], s[12:13], v[154:155]
	v_add_f64 v[132:133], v[142:143], v[132:133]
	v_fma_f64 v[142:143], v[152:153], s[12:13], -v[148:149]
	v_add_f64 v[134:135], v[142:143], v[134:135]
	v_mul_f64 v[142:143], v[82:83], s[6:7]
	v_add_f64 v[150:151], v[158:159], v[150:151]
	v_fma_f64 v[158:159], s[12:13], v[152:153], v[148:149]
	v_fma_f64 v[148:149], v[154:155], s[2:3], -v[142:143]
	v_add_f64 v[136:137], v[148:149], v[136:137]
	v_mul_f64 v[148:149], v[80:81], s[6:7]
	v_fmac_f64_e32 v[142:143], s[2:3], v[154:155]
	v_add_f64 v[124:125], v[142:143], v[124:125]
	v_fma_f64 v[142:143], v[152:153], s[2:3], -v[148:149]
	v_add_f64 v[126:127], v[142:143], v[126:127]
	v_mul_f64 v[142:143], v[82:83], s[52:53]
	v_add_f64 v[146:147], v[158:159], v[146:147]
	;; [unrolled: 10-line block ×4, first 2 shown]
	v_fma_f64 v[158:159], s[24:25], v[152:153], v[148:149]
	v_fma_f64 v[148:149], v[154:155], s[38:39], -v[142:143]
	v_add_f64 v[112:113], v[148:149], v[112:113]
	v_mul_f64 v[148:149], v[80:81], s[36:37]
	v_fmac_f64_e32 v[142:143], s[38:39], v[154:155]
	v_add_f64 v[142:143], v[142:143], v[100:101]
	v_fma_f64 v[100:101], v[152:153], s[38:39], -v[148:149]
	v_add_f64 v[122:123], v[158:159], v[122:123]
	v_fma_f64 v[158:159], s[38:39], v[152:153], v[148:149]
	v_add_f64 v[148:149], v[100:101], v[102:103]
	v_mul_f64 v[100:101], v[82:83], s[48:49]
	v_fmac_f64_e32 v[92:93], s[38:39], v[204:205]
	v_fma_f64 v[102:103], v[154:155], s[20:21], -v[100:101]
	v_add_f64 v[92:93], v[92:93], v[166:167]
	v_fma_f64 v[94:95], v[206:207], s[38:39], -v[94:95]
	v_add_f64 v[114:115], v[158:159], v[114:115]
	v_add_f64 v[158:159], v[102:103], v[104:105]
	v_mul_f64 v[102:103], v[80:81], s[48:49]
	v_fmac_f64_e32 v[100:101], s[20:21], v[154:155]
	v_add_f64 v[94:95], v[94:95], v[170:171]
	v_add_f64 v[162:163], v[100:101], v[92:93]
	v_fma_f64 v[92:93], v[152:153], s[20:21], -v[102:103]
	v_mul_f64 v[82:83], v[82:83], s[8:9]
	v_add_f64 v[178:179], v[74:75], -v[78:79]
	v_add_f64 v[96:97], v[96:97], v[174:175]
	v_add_f64 v[164:165], v[92:93], v[94:95]
	v_fma_f64 v[92:93], v[154:155], s[16:17], -v[82:83]
	v_mul_f64 v[80:81], v[80:81], s[8:9]
	v_add_f64 v[170:171], v[72:73], v[76:77]
	v_add_f64 v[174:175], v[72:73], -v[76:77]
	v_mul_f64 v[100:101], v[178:179], s[48:49]
	v_fma_f64 v[104:105], s[20:21], v[152:153], v[102:103]
	v_add_f64 v[166:167], v[92:93], v[96:97]
	v_fma_f64 v[92:93], s[16:17], v[152:153], v[80:81]
	v_add_f64 v[172:173], v[74:75], v[78:79]
	v_fma_f64 v[96:97], v[170:171], s[20:21], -v[100:101]
	v_mul_f64 v[102:103], v[174:175], s[48:49]
	v_fmac_f64_e32 v[100:101], s[20:21], v[170:171]
	v_add_f64 v[168:169], v[92:93], v[98:99]
	v_fma_f64 v[98:99], s[20:21], v[172:173], v[102:103]
	v_add_f64 v[100:101], v[100:101], v[116:117]
	v_fma_f64 v[102:103], v[172:173], s[20:21], -v[102:103]
	v_mul_f64 v[116:117], v[178:179], s[26:27]
	v_add_f64 v[160:161], v[104:105], v[106:107]
	v_add_f64 v[102:103], v[102:103], v[118:119]
	v_fma_f64 v[104:105], v[170:171], s[28:29], -v[116:117]
	v_mul_f64 v[118:119], v[174:175], s[26:27]
	v_fmac_f64_e32 v[116:117], s[28:29], v[170:171]
	v_mul_f64 v[76:77], v[178:179], s[36:37]
	v_add_f64 v[108:109], v[116:117], v[108:109]
	v_fma_f64 v[116:117], v[172:173], s[28:29], -v[118:119]
	v_fma_f64 v[72:73], v[170:171], s[38:39], -v[76:77]
	v_fmac_f64_e32 v[76:77], s[38:39], v[170:171]
	v_add_f64 v[110:111], v[116:117], v[110:111]
	v_mul_f64 v[116:117], v[178:179], s[42:43]
	v_add_f64 v[90:91], v[90:91], v[202:203]
	v_fmac_f64_e32 v[82:83], s[16:17], v[154:155]
	v_fma_f64 v[80:81], v[152:153], s[16:17], -v[80:81]
	v_add_f64 v[72:73], v[72:73], v[86:87]
	v_add_f64 v[76:77], v[76:77], v[84:85]
	v_mul_f64 v[84:85], v[178:179], s[46:47]
	v_mul_f64 v[86:87], v[174:175], s[46:47]
	;; [unrolled: 1-line block ×4, first 2 shown]
	v_fma_f64 v[106:107], s[28:29], v[172:173], v[118:119]
	v_fma_f64 v[118:119], v[170:171], s[12:13], -v[116:117]
	v_add_f64 v[154:155], v[82:83], v[88:89]
	v_add_f64 v[152:153], v[80:81], v[90:91]
	v_fma_f64 v[80:81], v[170:171], s[24:25], -v[84:85]
	v_fma_f64 v[82:83], s[24:25], v[172:173], v[86:87]
	v_fmac_f64_e32 v[84:85], s[24:25], v[170:171]
	v_fma_f64 v[86:87], v[172:173], s[24:25], -v[86:87]
	v_fma_f64 v[88:89], v[170:171], s[34:35], -v[92:93]
	v_fma_f64 v[90:91], s[34:35], v[172:173], v[94:95]
	v_fmac_f64_e32 v[92:93], s[34:35], v[170:171]
	v_fma_f64 v[94:95], v[172:173], s[34:35], -v[94:95]
	v_add_f64 v[112:113], v[118:119], v[112:113]
	v_mul_f64 v[118:119], v[174:175], s[42:43]
	v_accvgpr_write_b32 a7, v3
	v_mul_f64 v[78:79], v[174:175], s[36:37]
	v_add_f64 v[84:85], v[84:85], v[132:133]
	v_add_f64 v[86:87], v[86:87], v[134:135]
	;; [unrolled: 1-line block ×5, first 2 shown]
	v_fma_f64 v[120:121], s[12:13], v[172:173], v[118:119]
	v_mul_f64 v[124:125], v[178:179], s[8:9]
	v_mul_f64 v[126:127], v[174:175], s[8:9]
	;; [unrolled: 1-line block ×4, first 2 shown]
	v_accvgpr_write_b32 a6, v2
	v_accvgpr_write_b32 a5, v1
	;; [unrolled: 1-line block ×3, first 2 shown]
	v_fma_f64 v[74:75], s[38:39], v[172:173], v[78:79]
	v_fma_f64 v[78:79], v[172:173], s[38:39], -v[78:79]
	v_add_f64 v[96:97], v[96:97], v[128:129]
	v_add_f64 v[98:99], v[98:99], v[130:131]
	;; [unrolled: 1-line block ×4, first 2 shown]
	v_fmac_f64_e32 v[116:117], s[12:13], v[170:171]
	v_fma_f64 v[118:119], v[172:173], s[12:13], -v[118:119]
	v_fma_f64 v[120:121], v[170:171], s[16:17], -v[124:125]
	v_fma_f64 v[122:123], s[16:17], v[172:173], v[126:127]
	v_fmac_f64_e32 v[124:125], s[16:17], v[170:171]
	v_fma_f64 v[126:127], v[172:173], s[16:17], -v[126:127]
	v_fma_f64 v[128:129], v[170:171], s[2:3], -v[132:133]
	v_fma_f64 v[130:131], s[2:3], v[172:173], v[134:135]
	v_mul_lo_u16_e32 v0, 17, v238
	v_add_f64 v[74:75], v[74:75], v[150:151]
	v_add_f64 v[78:79], v[78:79], v[140:141]
	;; [unrolled: 1-line block ×14, first 2 shown]
	v_fmac_f64_e32 v[132:133], s[2:3], v[170:171]
	v_fma_f64 v[134:135], v[172:173], s[2:3], -v[134:135]
	v_lshl_add_u32 v197, v0, 4, v156
	v_lshlrev_b32_e32 v0, 8, v238
	v_add_f64 v[132:133], v[132:133], v[154:155]
	v_add_f64 v[134:135], v[134:135], v[152:153]
	s_barrier
	ds_write_b128 v197, v[68:71]
	ds_write_b128 v197, v[72:75] offset:16
	ds_write_b128 v197, v[80:83] offset:32
	;; [unrolled: 1-line block ×16, first 2 shown]
	s_waitcnt lgkmcnt(0)
	s_barrier
	global_load_dwordx4 v[80:83], v0, s[10:11]
	global_load_dwordx4 v[76:79], v0, s[10:11] offset:16
	global_load_dwordx4 v[72:75], v0, s[10:11] offset:32
	global_load_dwordx4 v[68:71], v0, s[10:11] offset:48
	global_load_dwordx4 v[96:99], v0, s[10:11] offset:64
	global_load_dwordx4 v[92:95], v0, s[10:11] offset:80
	global_load_dwordx4 v[88:91], v0, s[10:11] offset:96
	global_load_dwordx4 v[84:87], v0, s[10:11] offset:112
	global_load_dwordx4 v[112:115], v0, s[10:11] offset:128
	global_load_dwordx4 v[108:111], v0, s[10:11] offset:144
	global_load_dwordx4 v[104:107], v0, s[10:11] offset:160
	global_load_dwordx4 v[100:103], v0, s[10:11] offset:176
	global_load_dwordx4 v[128:131], v0, s[10:11] offset:192
	global_load_dwordx4 v[124:127], v0, s[10:11] offset:208
	global_load_dwordx4 v[120:123], v0, s[10:11] offset:224
	global_load_dwordx4 v[116:119], v0, s[10:11] offset:240
	ds_read_b128 v[136:139], v239
	ds_read_b128 v[132:135], v239 offset:272
	ds_read_b128 v[140:143], v239 offset:544
	;; [unrolled: 1-line block ×16, first 2 shown]
	v_accvgpr_write_b32 a15, v7
	v_accvgpr_write_b32 a14, v6
	;; [unrolled: 1-line block ×12, first 2 shown]
	s_mov_b64 s[10:11], 0x1210
	s_load_dwordx2 s[0:1], s[0:1], 0x38
	s_waitcnt vmcnt(15) lgkmcnt(0)
	v_mul_f64 v[156:157], v[134:135], v[82:83]
	v_fma_f64 v[228:229], v[132:133], v[80:81], -v[156:157]
	v_mul_f64 v[230:231], v[132:133], v[82:83]
	s_waitcnt vmcnt(14)
	v_mul_f64 v[132:133], v[142:143], v[78:79]
	v_fma_f64 v[194:195], v[140:141], v[76:77], -v[132:133]
	s_waitcnt vmcnt(13)
	v_mul_f64 v[132:133], v[146:147], v[74:75]
	v_fma_f64 v[186:187], v[144:145], v[72:73], -v[132:133]
	;; [unrolled: 3-line block ×4, first 2 shown]
	s_waitcnt vmcnt(10)
	v_mul_f64 v[132:133], v[162:163], v[94:95]
	v_mul_f64 v[172:173], v[148:149], v[70:71]
	v_fma_f64 v[158:159], v[160:161], v[92:93], -v[132:133]
	s_waitcnt vmcnt(9)
	v_mul_f64 v[132:133], v[170:171], v[90:91]
	v_mul_f64 v[192:193], v[140:141], v[78:79]
	v_fmac_f64_e32 v[172:173], v[150:151], v[68:69]
	v_fma_f64 v[150:151], v[168:169], v[88:89], -v[132:133]
	s_waitcnt vmcnt(8)
	v_mul_f64 v[132:133], v[180:181], v[86:87]
	v_fmac_f64_e32 v[192:193], v[142:143], v[76:77]
	v_mul_f64 v[182:183], v[144:145], v[74:75]
	v_fma_f64 v[142:143], v[178:179], v[84:85], -v[132:133]
	s_waitcnt vmcnt(7)
	v_mul_f64 v[132:133], v[190:191], v[114:115]
	v_fmac_f64_e32 v[182:183], v[146:147], v[72:73]
	v_mul_f64 v[164:165], v[152:153], v[98:99]
	;; [unrolled: 5-line block ×7, first 2 shown]
	v_fma_f64 v[190:191], v[216:217], v[124:125], -v[132:133]
	s_waitcnt vmcnt(1)
	v_mul_f64 v[132:133], v[222:223], v[122:123]
	v_fmac_f64_e32 v[152:153], v[202:203], v[108:109]
	v_fma_f64 v[202:203], v[220:221], v[120:121], -v[132:133]
	s_waitcnt vmcnt(0)
	v_mul_f64 v[132:133], v[226:227], v[118:119]
	v_mul_f64 v[160:161], v[204:205], v[106:107]
	v_fma_f64 v[204:205], v[224:225], v[116:117], -v[132:133]
	v_add_f64 v[132:133], v[136:137], v[228:229]
	v_fmac_f64_e32 v[230:231], v[134:135], v[80:81]
	v_add_f64 v[132:133], v[132:133], v[194:195]
	v_add_f64 v[134:135], v[138:139], v[230:231]
	v_add_f64 v[132:133], v[132:133], v[186:187]
	v_add_f64 v[134:135], v[134:135], v[192:193]
	v_add_f64 v[132:133], v[132:133], v[174:175]
	v_add_f64 v[134:135], v[134:135], v[182:183]
	v_add_f64 v[132:133], v[132:133], v[166:167]
	v_add_f64 v[134:135], v[134:135], v[172:173]
	v_add_f64 v[132:133], v[132:133], v[158:159]
	v_add_f64 v[134:135], v[134:135], v[164:165]
	v_add_f64 v[132:133], v[132:133], v[150:151]
	v_add_f64 v[134:135], v[134:135], v[156:157]
	v_add_f64 v[132:133], v[132:133], v[142:143]
	v_add_f64 v[134:135], v[134:135], v[148:149]
	v_add_f64 v[132:133], v[132:133], v[146:147]
	v_add_f64 v[134:135], v[134:135], v[140:141]
	v_add_f64 v[132:133], v[132:133], v[154:155]
	v_add_f64 v[134:135], v[134:135], v[144:145]
	v_add_f64 v[132:133], v[132:133], v[162:163]
	v_fmac_f64_e32 v[160:161], v[206:207], v[104:105]
	v_mul_f64 v[168:169], v[208:209], v[102:103]
	v_add_f64 v[134:135], v[134:135], v[152:153]
	v_add_f64 v[132:133], v[132:133], v[170:171]
	v_fmac_f64_e32 v[168:169], v[210:211], v[100:101]
	v_mul_f64 v[178:179], v[212:213], v[130:131]
	v_add_f64 v[134:135], v[134:135], v[160:161]
	v_add_f64 v[132:133], v[132:133], v[180:181]
	;; [unrolled: 4-line block ×3, first 2 shown]
	v_fmac_f64_e32 v[188:189], v[218:219], v[124:125]
	v_mul_f64 v[200:201], v[220:221], v[122:123]
	v_mul_f64 v[206:207], v[224:225], v[118:119]
	v_add_f64 v[134:135], v[134:135], v[178:179]
	v_add_f64 v[132:133], v[132:133], v[202:203]
	v_fmac_f64_e32 v[200:201], v[222:223], v[120:121]
	v_fmac_f64_e32 v[206:207], v[226:227], v[116:117]
	v_add_f64 v[134:135], v[134:135], v[188:189]
	v_add_f64 v[132:133], v[132:133], v[204:205]
	;; [unrolled: 1-line block ×3, first 2 shown]
	v_add_f64 v[204:205], v[228:229], -v[204:205]
	v_add_f64 v[134:135], v[134:135], v[200:201]
	v_add_f64 v[210:211], v[230:231], v[206:207]
	v_mul_f64 v[254:255], v[204:205], s[6:7]
	v_add_f64 v[134:135], v[134:135], v[206:207]
	v_add_f64 v[206:207], v[230:231], -v[206:207]
	v_fma_f64 v[0:1], s[2:3], v[210:211], v[254:255]
	v_fma_f64 v[2:3], v[210:211], s[2:3], -v[254:255]
	v_mul_f64 v[254:255], v[204:205], s[8:9]
	v_mul_f64 v[212:213], v[206:207], s[22:23]
	;; [unrolled: 1-line block ×9, first 2 shown]
	v_fma_f64 v[4:5], s[16:17], v[210:211], v[254:255]
	v_fma_f64 v[6:7], v[210:211], s[16:17], -v[254:255]
	v_mul_f64 v[254:255], v[204:205], s[26:27]
	v_fma_f64 v[214:215], v[208:209], s[24:25], -v[212:213]
	v_fmac_f64_e32 v[212:213], s[24:25], v[208:209]
	v_fma_f64 v[218:219], v[208:209], s[20:21], -v[216:217]
	v_fmac_f64_e32 v[216:217], s[20:21], v[208:209]
	;; [unrolled: 2-line block ×8, first 2 shown]
	v_mul_f64 v[208:209], v[204:205], s[22:23]
	v_mul_f64 v[246:247], v[204:205], s[18:19]
	;; [unrolled: 1-line block ×3, first 2 shown]
	v_fma_f64 v[8:9], s[28:29], v[210:211], v[254:255]
	v_fma_f64 v[10:11], v[210:211], s[28:29], -v[254:255]
	v_mul_f64 v[254:255], v[204:205], s[30:31]
	v_mul_f64 v[204:205], v[204:205], s[36:37]
	v_fma_f64 v[244:245], s[24:25], v[210:211], v[208:209]
	v_fma_f64 v[208:209], v[210:211], s[24:25], -v[208:209]
	v_fma_f64 v[248:249], s[20:21], v[210:211], v[246:247]
	v_fma_f64 v[246:247], v[210:211], s[20:21], -v[246:247]
	;; [unrolled: 2-line block ×5, first 2 shown]
	v_add_f64 v[210:211], v[136:137], v[214:215]
	v_add_f64 v[214:215], v[138:139], v[244:245]
	;; [unrolled: 1-line block ×18, first 2 shown]
	v_add_f64 v[194:195], v[194:195], -v[202:203]
	v_add_f64 v[202:203], v[192:193], v[200:201]
	v_add_f64 v[192:193], v[192:193], -v[200:201]
	v_mul_f64 v[200:201], v[192:193], s[18:19]
	v_add_f64 v[212:213], v[136:137], v[212:213]
	v_add_f64 v[218:219], v[136:137], v[218:219]
	;; [unrolled: 1-line block ×15, first 2 shown]
	v_fma_f64 v[206:207], v[204:205], s[20:21], -v[200:201]
	v_add_f64 v[206:207], v[206:207], v[210:211]
	v_mul_f64 v[210:211], v[194:195], s[18:19]
	v_fma_f64 v[254:255], s[20:21], v[202:203], v[210:211]
	v_fma_f64 v[210:211], v[202:203], s[20:21], -v[210:211]
	v_fmac_f64_e32 v[200:201], s[20:21], v[204:205]
	v_add_f64 v[208:209], v[210:211], v[208:209]
	v_mul_f64 v[210:211], v[192:193], s[6:7]
	v_add_f64 v[200:201], v[200:201], v[212:213]
	v_fma_f64 v[212:213], v[204:205], s[2:3], -v[210:211]
	v_add_f64 v[212:213], v[212:213], v[218:219]
	v_mul_f64 v[218:219], v[194:195], s[6:7]
	v_fmac_f64_e32 v[210:211], s[2:3], v[204:205]
	v_add_f64 v[214:215], v[254:255], v[214:215]
	v_fma_f64 v[254:255], s[2:3], v[202:203], v[218:219]
	v_add_f64 v[210:211], v[210:211], v[216:217]
	v_fma_f64 v[216:217], v[202:203], s[2:3], -v[218:219]
	v_mul_f64 v[218:219], v[192:193], s[26:27]
	v_add_f64 v[216:217], v[216:217], v[246:247]
	v_fma_f64 v[246:247], v[204:205], s[28:29], -v[218:219]
	v_add_f64 v[222:223], v[246:247], v[222:223]
	v_mul_f64 v[246:247], v[194:195], s[26:27]
	v_fmac_f64_e32 v[218:219], s[28:29], v[204:205]
	v_add_f64 v[244:245], v[254:255], v[244:245]
	v_fma_f64 v[254:255], s[28:29], v[202:203], v[246:247]
	v_add_f64 v[218:219], v[218:219], v[220:221]
	v_fma_f64 v[220:221], v[202:203], s[28:29], -v[246:247]
	v_mul_f64 v[246:247], v[192:193], s[36:37]
	v_add_f64 v[220:221], v[220:221], v[250:251]
	v_fma_f64 v[250:251], v[204:205], s[38:39], -v[246:247]
	v_add_f64 v[226:227], v[250:251], v[226:227]
	v_mul_f64 v[250:251], v[194:195], s[36:37]
	v_fmac_f64_e32 v[246:247], s[38:39], v[204:205]
	v_add_f64 v[224:225], v[246:247], v[224:225]
	v_fma_f64 v[246:247], v[202:203], s[38:39], -v[250:251]
	v_add_f64 v[2:3], v[246:247], v[2:3]
	v_mul_f64 v[246:247], v[192:193], s[44:45]
	v_add_f64 v[248:249], v[254:255], v[248:249]
	v_fma_f64 v[254:255], s[38:39], v[202:203], v[250:251]
	v_fma_f64 v[250:251], v[204:205], s[34:35], -v[246:247]
	v_add_f64 v[230:231], v[250:251], v[230:231]
	v_mul_f64 v[250:251], v[194:195], s[44:45]
	v_fmac_f64_e32 v[246:247], s[34:35], v[204:205]
	v_add_f64 v[228:229], v[246:247], v[228:229]
	v_fma_f64 v[246:247], v[202:203], s[34:35], -v[250:251]
	v_add_f64 v[6:7], v[246:247], v[6:7]
	v_mul_f64 v[246:247], v[192:193], s[40:41]
	v_add_f64 v[0:1], v[254:255], v[0:1]
	v_fma_f64 v[254:255], s[34:35], v[202:203], v[250:251]
	;; [unrolled: 10-line block ×3, first 2 shown]
	v_fma_f64 v[250:251], v[204:205], s[12:13], -v[246:247]
	v_add_f64 v[240:241], v[250:251], v[240:241]
	v_mul_f64 v[250:251], v[194:195], s[42:43]
	v_fmac_f64_e32 v[246:247], s[12:13], v[204:205]
	v_add_f64 v[236:237], v[246:247], v[236:237]
	v_fma_f64 v[246:247], v[202:203], s[12:13], -v[250:251]
	v_mul_f64 v[192:193], v[192:193], s[46:47]
	v_add_f64 v[14:15], v[246:247], v[14:15]
	v_fma_f64 v[246:247], v[204:205], s[24:25], -v[192:193]
	v_mul_f64 v[194:195], v[194:195], s[46:47]
	v_fmac_f64_e32 v[192:193], s[24:25], v[204:205]
	v_add_f64 v[136:137], v[192:193], v[136:137]
	v_fma_f64 v[192:193], v[202:203], s[24:25], -v[194:195]
	v_add_f64 v[138:139], v[192:193], v[138:139]
	v_add_f64 v[192:193], v[186:187], v[190:191]
	v_add_f64 v[186:187], v[186:187], -v[190:191]
	v_add_f64 v[190:191], v[182:183], v[188:189]
	v_add_f64 v[182:183], v[182:183], -v[188:189]
	v_mul_f64 v[188:189], v[182:183], s[14:15]
	v_add_f64 v[8:9], v[254:255], v[8:9]
	v_fma_f64 v[254:255], s[12:13], v[202:203], v[250:251]
	v_add_f64 v[242:243], v[246:247], v[242:243]
	v_fma_f64 v[246:247], s[24:25], v[202:203], v[194:195]
	v_fma_f64 v[194:195], v[192:193], s[12:13], -v[188:189]
	v_mul_f64 v[202:203], v[186:187], s[14:15]
	v_fmac_f64_e32 v[188:189], s[12:13], v[192:193]
	v_fma_f64 v[204:205], s[12:13], v[190:191], v[202:203]
	v_add_f64 v[188:189], v[188:189], v[200:201]
	v_fma_f64 v[200:201], v[190:191], s[12:13], -v[202:203]
	v_mul_f64 v[202:203], v[182:183], s[26:27]
	v_add_f64 v[194:195], v[194:195], v[206:207]
	v_add_f64 v[200:201], v[200:201], v[208:209]
	v_fma_f64 v[206:207], v[192:193], s[28:29], -v[202:203]
	v_mul_f64 v[208:209], v[186:187], s[26:27]
	v_fmac_f64_e32 v[202:203], s[28:29], v[192:193]
	v_add_f64 v[206:207], v[206:207], v[212:213]
	v_fma_f64 v[212:213], s[28:29], v[190:191], v[208:209]
	v_add_f64 v[202:203], v[202:203], v[210:211]
	v_fma_f64 v[208:209], v[190:191], s[28:29], -v[208:209]
	v_mul_f64 v[210:211], v[182:183], s[50:51]
	v_add_f64 v[204:205], v[204:205], v[214:215]
	v_add_f64 v[208:209], v[208:209], v[216:217]
	v_fma_f64 v[214:215], v[192:193], s[38:39], -v[210:211]
	v_mul_f64 v[216:217], v[186:187], s[50:51]
	v_fmac_f64_e32 v[210:211], s[38:39], v[192:193]
	v_add_f64 v[214:215], v[214:215], v[222:223]
	v_fma_f64 v[222:223], s[38:39], v[190:191], v[216:217]
	v_add_f64 v[210:211], v[210:211], v[218:219]
	v_fma_f64 v[216:217], v[190:191], s[38:39], -v[216:217]
	v_mul_f64 v[218:219], v[182:183], s[40:41]
	v_add_f64 v[216:217], v[216:217], v[220:221]
	v_fma_f64 v[220:221], v[192:193], s[16:17], -v[218:219]
	v_add_f64 v[220:221], v[220:221], v[226:227]
	v_mul_f64 v[226:227], v[186:187], s[40:41]
	v_fmac_f64_e32 v[218:219], s[16:17], v[192:193]
	v_add_f64 v[218:219], v[218:219], v[224:225]
	v_fma_f64 v[224:225], v[190:191], s[16:17], -v[226:227]
	v_add_f64 v[2:3], v[224:225], v[2:3]
	v_mul_f64 v[224:225], v[182:183], s[48:49]
	v_add_f64 v[212:213], v[212:213], v[244:245]
	v_fma_f64 v[244:245], s[16:17], v[190:191], v[226:227]
	v_fma_f64 v[226:227], v[192:193], s[20:21], -v[224:225]
	v_add_f64 v[226:227], v[226:227], v[230:231]
	v_mul_f64 v[230:231], v[186:187], s[48:49]
	v_fmac_f64_e32 v[224:225], s[20:21], v[192:193]
	v_add_f64 v[224:225], v[224:225], v[228:229]
	v_fma_f64 v[228:229], v[190:191], s[20:21], -v[230:231]
	v_add_f64 v[6:7], v[228:229], v[6:7]
	v_mul_f64 v[228:229], v[182:183], s[22:23]
	v_add_f64 v[0:1], v[244:245], v[0:1]
	v_fma_f64 v[244:245], s[20:21], v[190:191], v[230:231]
	;; [unrolled: 10-line block ×3, first 2 shown]
	v_fma_f64 v[234:235], v[192:193], s[2:3], -v[232:233]
	v_add_f64 v[234:235], v[234:235], v[240:241]
	v_mul_f64 v[240:241], v[186:187], s[6:7]
	v_fmac_f64_e32 v[232:233], s[2:3], v[192:193]
	v_add_f64 v[232:233], v[232:233], v[236:237]
	v_fma_f64 v[236:237], v[190:191], s[2:3], -v[240:241]
	v_mul_f64 v[182:183], v[182:183], s[30:31]
	v_add_f64 v[14:15], v[236:237], v[14:15]
	v_fma_f64 v[236:237], v[192:193], s[34:35], -v[182:183]
	v_mul_f64 v[186:187], v[186:187], s[30:31]
	v_fmac_f64_e32 v[182:183], s[34:35], v[192:193]
	v_add_f64 v[136:137], v[182:183], v[136:137]
	v_fma_f64 v[182:183], v[190:191], s[34:35], -v[186:187]
	v_add_f64 v[138:139], v[182:183], v[138:139]
	v_add_f64 v[182:183], v[174:175], v[180:181]
	v_add_f64 v[174:175], v[174:175], -v[180:181]
	v_add_f64 v[180:181], v[172:173], v[178:179]
	v_add_f64 v[172:173], v[172:173], -v[178:179]
	v_mul_f64 v[178:179], v[172:173], s[6:7]
	v_add_f64 v[8:9], v[244:245], v[8:9]
	v_fma_f64 v[244:245], s[2:3], v[190:191], v[240:241]
	v_fma_f64 v[240:241], s[34:35], v[190:191], v[186:187]
	v_fma_f64 v[186:187], v[182:183], s[2:3], -v[178:179]
	v_mul_f64 v[190:191], v[174:175], s[6:7]
	v_fmac_f64_e32 v[178:179], s[2:3], v[182:183]
	v_fma_f64 v[192:193], s[2:3], v[180:181], v[190:191]
	v_add_f64 v[178:179], v[178:179], v[188:189]
	v_fma_f64 v[188:189], v[180:181], s[2:3], -v[190:191]
	v_mul_f64 v[190:191], v[172:173], s[36:37]
	v_add_f64 v[186:187], v[186:187], v[194:195]
	v_add_f64 v[188:189], v[188:189], v[200:201]
	v_fma_f64 v[194:195], v[182:183], s[38:39], -v[190:191]
	v_mul_f64 v[200:201], v[174:175], s[36:37]
	v_fmac_f64_e32 v[190:191], s[38:39], v[182:183]
	v_add_f64 v[192:193], v[192:193], v[204:205]
	v_fma_f64 v[204:205], s[38:39], v[180:181], v[200:201]
	v_add_f64 v[190:191], v[190:191], v[202:203]
	v_fma_f64 v[200:201], v[180:181], s[38:39], -v[200:201]
	v_mul_f64 v[202:203], v[172:173], s[40:41]
	v_add_f64 v[194:195], v[194:195], v[206:207]
	v_add_f64 v[200:201], v[200:201], v[208:209]
	v_fma_f64 v[206:207], v[182:183], s[16:17], -v[202:203]
	v_mul_f64 v[208:209], v[174:175], s[40:41]
	v_fmac_f64_e32 v[202:203], s[16:17], v[182:183]
	v_add_f64 v[204:205], v[204:205], v[212:213]
	v_fma_f64 v[212:213], s[16:17], v[180:181], v[208:209]
	v_add_f64 v[202:203], v[202:203], v[210:211]
	v_fma_f64 v[208:209], v[180:181], s[16:17], -v[208:209]
	v_mul_f64 v[210:211], v[172:173], s[46:47]
	v_add_f64 v[206:207], v[206:207], v[214:215]
	v_add_f64 v[208:209], v[208:209], v[216:217]
	v_fma_f64 v[214:215], v[182:183], s[24:25], -v[210:211]
	v_mul_f64 v[216:217], v[174:175], s[46:47]
	v_add_f64 v[214:215], v[214:215], v[220:221]
	v_fma_f64 v[220:221], s[24:25], v[180:181], v[216:217]
	v_add_f64 v[222:223], v[222:223], v[248:249]
	v_add_f64 v[0:1], v[220:221], v[0:1]
	v_fma_f64 v[216:217], v[180:181], s[24:25], -v[216:217]
	v_mul_f64 v[220:221], v[174:175], s[14:15]
	v_add_f64 v[212:213], v[212:213], v[222:223]
	v_fmac_f64_e32 v[210:211], s[24:25], v[182:183]
	v_add_f64 v[2:3], v[216:217], v[2:3]
	v_mul_f64 v[216:217], v[172:173], s[14:15]
	v_fma_f64 v[222:223], s[12:13], v[180:181], v[220:221]
	v_fma_f64 v[220:221], v[180:181], s[12:13], -v[220:221]
	v_add_f64 v[210:211], v[210:211], v[218:219]
	v_fma_f64 v[218:219], v[182:183], s[12:13], -v[216:217]
	v_fmac_f64_e32 v[216:217], s[12:13], v[182:183]
	v_add_f64 v[6:7], v[220:221], v[6:7]
	v_mul_f64 v[220:221], v[172:173], s[30:31]
	v_add_f64 v[4:5], v[222:223], v[4:5]
	v_add_f64 v[216:217], v[216:217], v[224:225]
	v_fma_f64 v[222:223], v[182:183], s[34:35], -v[220:221]
	v_mul_f64 v[224:225], v[174:175], s[30:31]
	v_fmac_f64_e32 v[220:221], s[34:35], v[182:183]
	v_add_f64 v[218:219], v[218:219], v[226:227]
	v_fma_f64 v[226:227], s[34:35], v[180:181], v[224:225]
	v_add_f64 v[220:221], v[220:221], v[228:229]
	v_fma_f64 v[224:225], v[180:181], s[34:35], -v[224:225]
	v_mul_f64 v[228:229], v[174:175], s[52:53]
	v_add_f64 v[222:223], v[222:223], v[230:231]
	v_add_f64 v[10:11], v[224:225], v[10:11]
	v_mul_f64 v[224:225], v[172:173], s[52:53]
	v_fma_f64 v[230:231], s[28:29], v[180:181], v[228:229]
	v_fma_f64 v[228:229], v[180:181], s[28:29], -v[228:229]
	v_mul_f64 v[172:173], v[172:173], s[48:49]
	v_add_f64 v[14:15], v[228:229], v[14:15]
	v_fma_f64 v[228:229], v[182:183], s[20:21], -v[172:173]
	v_mul_f64 v[174:175], v[174:175], s[48:49]
	v_fmac_f64_e32 v[172:173], s[20:21], v[182:183]
	v_add_f64 v[136:137], v[172:173], v[136:137]
	v_fma_f64 v[172:173], v[180:181], s[20:21], -v[174:175]
	v_add_f64 v[12:13], v[254:255], v[12:13]
	v_add_f64 v[138:139], v[172:173], v[138:139]
	;; [unrolled: 1-line block ×3, first 2 shown]
	v_add_f64 v[166:167], v[166:167], -v[170:171]
	v_add_f64 v[170:171], v[164:165], v[168:169]
	v_add_f64 v[164:165], v[164:165], -v[168:169]
	v_add_f64 v[12:13], v[244:245], v[12:13]
	v_mul_f64 v[168:169], v[164:165], s[8:9]
	v_add_f64 v[12:13], v[230:231], v[12:13]
	v_fma_f64 v[230:231], s[20:21], v[180:181], v[174:175]
	v_fma_f64 v[174:175], v[172:173], s[16:17], -v[168:169]
	v_mul_f64 v[180:181], v[166:167], s[8:9]
	v_fmac_f64_e32 v[168:169], s[16:17], v[172:173]
	v_add_f64 v[168:169], v[168:169], v[178:179]
	v_fma_f64 v[178:179], v[170:171], s[16:17], -v[180:181]
	v_add_f64 v[8:9], v[226:227], v[8:9]
	v_fma_f64 v[226:227], v[182:183], s[28:29], -v[224:225]
	v_fmac_f64_e32 v[224:225], s[28:29], v[182:183]
	v_fma_f64 v[182:183], s[16:17], v[170:171], v[180:181]
	v_add_f64 v[178:179], v[178:179], v[188:189]
	v_mul_f64 v[188:189], v[166:167], s[44:45]
	v_add_f64 v[182:183], v[182:183], v[192:193]
	v_mul_f64 v[180:181], v[164:165], s[44:45]
	v_fma_f64 v[192:193], s[34:35], v[170:171], v[188:189]
	v_fma_f64 v[188:189], v[170:171], s[34:35], -v[188:189]
	v_add_f64 v[174:175], v[174:175], v[186:187]
	v_fma_f64 v[186:187], v[172:173], s[34:35], -v[180:181]
	v_fmac_f64_e32 v[180:181], s[34:35], v[172:173]
	v_add_f64 v[188:189], v[188:189], v[200:201]
	v_mul_f64 v[200:201], v[166:167], s[48:49]
	v_add_f64 v[192:193], v[192:193], v[204:205]
	v_add_f64 v[180:181], v[180:181], v[190:191]
	v_mul_f64 v[190:191], v[164:165], s[48:49]
	v_fma_f64 v[204:205], s[20:21], v[170:171], v[200:201]
	v_fma_f64 v[200:201], v[170:171], s[20:21], -v[200:201]
	v_add_f64 v[186:187], v[186:187], v[194:195]
	v_fma_f64 v[194:195], v[172:173], s[20:21], -v[190:191]
	v_fmac_f64_e32 v[190:191], s[20:21], v[172:173]
	v_add_f64 v[200:201], v[200:201], v[208:209]
	v_mul_f64 v[208:209], v[166:167], s[14:15]
	v_add_f64 v[204:205], v[204:205], v[212:213]
	v_add_f64 v[190:191], v[190:191], v[202:203]
	v_mul_f64 v[202:203], v[164:165], s[14:15]
	v_fma_f64 v[212:213], s[12:13], v[170:171], v[208:209]
	v_add_f64 v[194:195], v[194:195], v[206:207]
	v_fma_f64 v[206:207], v[172:173], s[12:13], -v[202:203]
	v_add_f64 v[0:1], v[212:213], v[0:1]
	v_fma_f64 v[208:209], v[170:171], s[12:13], -v[208:209]
	v_mul_f64 v[212:213], v[166:167], s[36:37]
	v_add_f64 v[206:207], v[206:207], v[214:215]
	v_fmac_f64_e32 v[202:203], s[12:13], v[172:173]
	v_add_f64 v[2:3], v[208:209], v[2:3]
	v_mul_f64 v[208:209], v[164:165], s[36:37]
	v_fma_f64 v[214:215], s[38:39], v[170:171], v[212:213]
	v_fma_f64 v[212:213], v[170:171], s[38:39], -v[212:213]
	v_add_f64 v[202:203], v[202:203], v[210:211]
	v_fma_f64 v[210:211], v[172:173], s[38:39], -v[208:209]
	v_fmac_f64_e32 v[208:209], s[38:39], v[172:173]
	v_add_f64 v[6:7], v[212:213], v[6:7]
	v_mul_f64 v[212:213], v[164:165], s[54:55]
	v_add_f64 v[4:5], v[214:215], v[4:5]
	v_add_f64 v[208:209], v[208:209], v[216:217]
	v_fma_f64 v[214:215], v[172:173], s[2:3], -v[212:213]
	v_mul_f64 v[216:217], v[166:167], s[54:55]
	v_fmac_f64_e32 v[212:213], s[2:3], v[172:173]
	v_add_f64 v[210:211], v[210:211], v[218:219]
	v_fma_f64 v[218:219], s[2:3], v[170:171], v[216:217]
	v_add_f64 v[212:213], v[212:213], v[220:221]
	v_fma_f64 v[216:217], v[170:171], s[2:3], -v[216:217]
	v_mul_f64 v[220:221], v[166:167], s[22:23]
	v_add_f64 v[214:215], v[214:215], v[222:223]
	v_add_f64 v[10:11], v[216:217], v[10:11]
	v_mul_f64 v[216:217], v[164:165], s[22:23]
	v_fma_f64 v[222:223], s[24:25], v[170:171], v[220:221]
	v_fma_f64 v[220:221], v[170:171], s[24:25], -v[220:221]
	v_mul_f64 v[164:165], v[164:165], s[26:27]
	v_add_f64 v[14:15], v[220:221], v[14:15]
	v_fma_f64 v[220:221], v[172:173], s[28:29], -v[164:165]
	v_mul_f64 v[166:167], v[166:167], s[26:27]
	v_fmac_f64_e32 v[164:165], s[28:29], v[172:173]
	v_add_f64 v[12:13], v[222:223], v[12:13]
	v_fma_f64 v[222:223], s[28:29], v[170:171], v[166:167]
	v_add_f64 v[136:137], v[164:165], v[136:137]
	v_fma_f64 v[164:165], v[170:171], s[28:29], -v[166:167]
	v_add_f64 v[166:167], v[156:157], v[160:161]
	v_add_f64 v[156:157], v[156:157], -v[160:161]
	v_add_f64 v[138:139], v[164:165], v[138:139]
	v_add_f64 v[164:165], v[158:159], v[162:163]
	v_add_f64 v[158:159], v[158:159], -v[162:163]
	v_mul_f64 v[160:161], v[156:157], s[26:27]
	v_fma_f64 v[162:163], v[164:165], s[28:29], -v[160:161]
	v_mul_f64 v[170:171], v[158:159], s[26:27]
	v_fmac_f64_e32 v[160:161], s[28:29], v[164:165]
	v_add_f64 v[160:161], v[160:161], v[168:169]
	v_fma_f64 v[168:169], v[166:167], s[28:29], -v[170:171]
	v_add_f64 v[8:9], v[218:219], v[8:9]
	v_fma_f64 v[218:219], v[172:173], s[24:25], -v[216:217]
	v_fmac_f64_e32 v[216:217], s[24:25], v[172:173]
	v_fma_f64 v[172:173], s[28:29], v[166:167], v[170:171]
	v_add_f64 v[168:169], v[168:169], v[178:179]
	v_mul_f64 v[178:179], v[158:159], s[40:41]
	v_add_f64 v[172:173], v[172:173], v[182:183]
	v_mul_f64 v[170:171], v[156:157], s[40:41]
	v_fma_f64 v[182:183], s[16:17], v[166:167], v[178:179]
	v_fma_f64 v[178:179], v[166:167], s[16:17], -v[178:179]
	v_add_f64 v[162:163], v[162:163], v[174:175]
	v_fma_f64 v[174:175], v[164:165], s[16:17], -v[170:171]
	v_fmac_f64_e32 v[170:171], s[16:17], v[164:165]
	v_add_f64 v[178:179], v[178:179], v[188:189]
	v_mul_f64 v[188:189], v[158:159], s[22:23]
	v_add_f64 v[182:183], v[182:183], v[192:193]
	v_add_f64 v[170:171], v[170:171], v[180:181]
	v_mul_f64 v[180:181], v[156:157], s[22:23]
	v_fma_f64 v[192:193], s[24:25], v[166:167], v[188:189]
	v_fma_f64 v[188:189], v[166:167], s[24:25], -v[188:189]
	v_add_f64 v[174:175], v[174:175], v[186:187]
	v_fma_f64 v[186:187], v[164:165], s[24:25], -v[180:181]
	v_fmac_f64_e32 v[180:181], s[24:25], v[164:165]
	v_add_f64 v[188:189], v[188:189], v[200:201]
	v_mul_f64 v[200:201], v[158:159], s[30:31]
	v_add_f64 v[192:193], v[192:193], v[204:205]
	v_add_f64 v[180:181], v[180:181], v[190:191]
	v_mul_f64 v[190:191], v[156:157], s[30:31]
	v_fma_f64 v[204:205], s[34:35], v[166:167], v[200:201]
	v_fma_f64 v[200:201], v[166:167], s[34:35], -v[200:201]
	v_add_f64 v[246:247], v[246:247], v[252:253]
	v_add_f64 v[186:187], v[186:187], v[194:195]
	v_fma_f64 v[194:195], v[164:165], s[34:35], -v[190:191]
	v_fmac_f64_e32 v[190:191], s[34:35], v[164:165]
	v_add_f64 v[2:3], v[200:201], v[2:3]
	v_mul_f64 v[200:201], v[156:157], s[54:55]
	v_add_f64 v[240:241], v[240:241], v[246:247]
	v_add_f64 v[190:191], v[190:191], v[202:203]
	v_fma_f64 v[202:203], v[164:165], s[2:3], -v[200:201]
	v_fmac_f64_e32 v[200:201], s[2:3], v[164:165]
	v_add_f64 v[236:237], v[236:237], v[242:243]
	v_add_f64 v[230:231], v[230:231], v[240:241]
	v_add_f64 v[200:201], v[200:201], v[208:209]
	v_mul_f64 v[208:209], v[158:159], s[18:19]
	v_add_f64 v[228:229], v[228:229], v[236:237]
	v_add_f64 v[222:223], v[222:223], v[230:231]
	;; [unrolled: 1-line block ×3, first 2 shown]
	v_fma_f64 v[210:211], s[20:21], v[166:167], v[208:209]
	v_fma_f64 v[208:209], v[166:167], s[20:21], -v[208:209]
	v_add_f64 v[230:231], v[148:149], v[152:153]
	v_add_f64 v[148:149], v[148:149], -v[152:153]
	v_add_f64 v[226:227], v[226:227], v[234:235]
	v_add_f64 v[220:221], v[220:221], v[228:229]
	;; [unrolled: 1-line block ×3, first 2 shown]
	v_mul_f64 v[208:209], v[156:157], s[36:37]
	v_add_f64 v[228:229], v[150:151], v[154:155]
	v_mul_f64 v[152:153], v[148:149], s[30:31]
	v_add_f64 v[224:225], v[224:225], v[232:233]
	v_add_f64 v[218:219], v[218:219], v[226:227]
	;; [unrolled: 1-line block ×3, first 2 shown]
	v_mul_f64 v[204:205], v[158:159], s[54:55]
	v_add_f64 v[8:9], v[210:211], v[8:9]
	v_fma_f64 v[210:211], v[164:165], s[38:39], -v[208:209]
	v_add_f64 v[150:151], v[150:151], -v[154:155]
	v_fma_f64 v[154:155], v[228:229], s[34:35], -v[152:153]
	v_fmac_f64_e32 v[152:153], s[34:35], v[228:229]
	v_add_f64 v[216:217], v[216:217], v[224:225]
	v_add_f64 v[194:195], v[194:195], v[206:207]
	v_fma_f64 v[206:207], s[2:3], v[166:167], v[204:205]
	v_fma_f64 v[204:205], v[166:167], s[2:3], -v[204:205]
	v_add_f64 v[224:225], v[210:211], v[218:219]
	v_mul_f64 v[210:211], v[158:159], s[36:37]
	v_fmac_f64_e32 v[208:209], s[38:39], v[164:165]
	v_add_f64 v[236:237], v[152:153], v[160:161]
	v_mul_f64 v[160:161], v[148:149], s[52:53]
	v_add_f64 v[6:7], v[204:205], v[6:7]
	v_mul_f64 v[204:205], v[156:157], s[18:19]
	v_add_f64 v[226:227], v[208:209], v[216:217]
	v_fma_f64 v[208:209], v[166:167], s[38:39], -v[210:211]
	v_mul_f64 v[156:157], v[156:157], s[42:43]
	v_add_f64 v[232:233], v[154:155], v[162:163]
	v_fma_f64 v[162:163], v[228:229], s[28:29], -v[160:161]
	v_add_f64 v[4:5], v[206:207], v[4:5]
	v_fma_f64 v[206:207], v[164:165], s[20:21], -v[204:205]
	v_fmac_f64_e32 v[204:205], s[20:21], v[164:165]
	v_add_f64 v[14:15], v[208:209], v[14:15]
	v_fma_f64 v[208:209], v[164:165], s[12:13], -v[156:157]
	v_mul_f64 v[158:159], v[158:159], s[42:43]
	v_fmac_f64_e32 v[156:157], s[12:13], v[164:165]
	v_add_f64 v[164:165], v[162:163], v[194:195]
	v_mul_f64 v[162:163], v[150:151], s[52:53]
	v_add_f64 v[204:205], v[204:205], v[212:213]
	v_fma_f64 v[212:213], s[38:39], v[166:167], v[210:211]
	v_add_f64 v[220:221], v[208:209], v[220:221]
	v_fma_f64 v[208:209], s[12:13], v[166:167], v[158:159]
	v_add_f64 v[136:137], v[156:157], v[136:137]
	v_fma_f64 v[156:157], v[166:167], s[12:13], -v[158:159]
	v_fma_f64 v[166:167], s[28:29], v[230:231], v[162:163]
	v_add_f64 v[166:167], v[166:167], v[0:1]
	v_fma_f64 v[0:1], v[230:231], s[28:29], -v[162:163]
	v_mul_f64 v[154:155], v[150:151], s[30:31]
	v_add_f64 v[162:163], v[0:1], v[2:3]
	v_mul_f64 v[0:1], v[148:149], s[22:23]
	v_add_f64 v[138:139], v[156:157], v[138:139]
	v_fma_f64 v[156:157], s[34:35], v[230:231], v[154:155]
	v_fma_f64 v[152:153], v[230:231], s[34:35], -v[154:155]
	v_fma_f64 v[2:3], v[228:229], s[24:25], -v[0:1]
	v_add_f64 v[234:235], v[156:157], v[172:173]
	v_add_f64 v[240:241], v[152:153], v[168:169]
	v_mul_f64 v[152:153], v[148:149], s[42:43]
	v_add_f64 v[172:173], v[2:3], v[202:203]
	v_mul_f64 v[2:3], v[150:151], s[22:23]
	v_fma_f64 v[154:155], v[228:229], s[12:13], -v[152:153]
	v_fma_f64 v[168:169], s[24:25], v[230:231], v[2:3]
	v_fmac_f64_e32 v[0:1], s[24:25], v[228:229]
	v_add_f64 v[242:243], v[154:155], v[174:175]
	v_fmac_f64_e32 v[152:153], s[12:13], v[228:229]
	v_add_f64 v[174:175], v[168:169], v[4:5]
	v_add_f64 v[168:169], v[0:1], v[200:201]
	v_fma_f64 v[0:1], v[230:231], s[24:25], -v[2:3]
	v_add_f64 v[218:219], v[152:153], v[170:171]
	v_add_f64 v[170:171], v[0:1], v[6:7]
	v_mul_f64 v[0:1], v[148:149], s[36:37]
	v_add_f64 v[206:207], v[206:207], v[214:215]
	v_fma_f64 v[2:3], v[228:229], s[38:39], -v[0:1]
	v_mul_f64 v[154:155], v[150:151], s[42:43]
	v_add_f64 v[214:215], v[2:3], v[206:207]
	v_mul_f64 v[2:3], v[150:151], s[36:37]
	v_fmac_f64_e32 v[0:1], s[38:39], v[228:229]
	v_fma_f64 v[152:153], v[230:231], s[12:13], -v[154:155]
	v_add_f64 v[210:211], v[0:1], v[204:205]
	v_fma_f64 v[0:1], v[230:231], s[38:39], -v[2:3]
	v_add_f64 v[222:223], v[208:209], v[222:223]
	v_add_f64 v[216:217], v[152:153], v[178:179]
	v_mul_f64 v[152:153], v[148:149], s[6:7]
	v_add_f64 v[208:209], v[0:1], v[10:11]
	v_mul_f64 v[0:1], v[148:149], s[48:49]
	v_fma_f64 v[156:157], s[12:13], v[230:231], v[154:155]
	v_fma_f64 v[154:155], v[228:229], s[2:3], -v[152:153]
	v_fma_f64 v[4:5], s[38:39], v[230:231], v[2:3]
	v_fma_f64 v[2:3], v[228:229], s[20:21], -v[0:1]
	v_add_f64 v[244:245], v[156:157], v[182:183]
	v_add_f64 v[156:157], v[154:155], v[186:187]
	v_mul_f64 v[154:155], v[150:151], s[6:7]
	v_fmac_f64_e32 v[160:161], s[28:29], v[228:229]
	v_add_f64 v[202:203], v[2:3], v[224:225]
	v_mul_f64 v[2:3], v[150:151], s[48:49]
	v_fmac_f64_e32 v[0:1], s[20:21], v[228:229]
	v_fma_f64 v[158:159], s[2:3], v[230:231], v[154:155]
	v_fma_f64 v[154:155], v[230:231], s[2:3], -v[154:155]
	v_add_f64 v[160:161], v[160:161], v[190:191]
	v_add_f64 v[190:191], v[0:1], v[226:227]
	v_fma_f64 v[0:1], v[230:231], s[20:21], -v[2:3]
	v_add_f64 v[154:155], v[154:155], v[188:189]
	v_add_f64 v[188:189], v[0:1], v[14:15]
	v_mul_f64 v[0:1], v[148:149], s[8:9]
	v_add_f64 v[12:13], v[212:213], v[12:13]
	v_add_f64 v[212:213], v[4:5], v[8:9]
	v_fma_f64 v[4:5], s[20:21], v[230:231], v[2:3]
	v_fma_f64 v[2:3], v[228:229], s[16:17], -v[0:1]
	v_fmac_f64_e32 v[152:153], s[2:3], v[228:229]
	v_add_f64 v[186:187], v[2:3], v[220:221]
	v_mul_f64 v[2:3], v[150:151], s[8:9]
	v_fmac_f64_e32 v[0:1], s[16:17], v[228:229]
	v_add_f64 v[152:153], v[152:153], v[180:181]
	v_add_f64 v[180:181], v[0:1], v[136:137]
	v_fma_f64 v[0:1], v[230:231], s[16:17], -v[2:3]
	v_add_f64 v[206:207], v[140:141], -v[144:145]
	v_add_f64 v[178:179], v[0:1], v[138:139]
	v_add_f64 v[194:195], v[142:143], v[146:147]
	v_mul_f64 v[0:1], v[206:207], s[36:37]
	v_add_f64 v[200:201], v[4:5], v[12:13]
	v_fma_f64 v[4:5], s[16:17], v[230:231], v[2:3]
	v_add_f64 v[204:205], v[142:143], -v[146:147]
	v_fma_f64 v[2:3], v[194:195], s[38:39], -v[0:1]
	v_add_f64 v[158:159], v[158:159], v[192:193]
	v_add_f64 v[192:193], v[140:141], v[144:145]
	;; [unrolled: 1-line block ×3, first 2 shown]
	v_mul_f64 v[2:3], v[204:205], s[36:37]
	v_fmac_f64_e32 v[0:1], s[38:39], v[194:195]
	v_add_f64 v[136:137], v[0:1], v[236:237]
	v_fma_f64 v[0:1], v[192:193], s[38:39], -v[2:3]
	v_add_f64 v[138:139], v[0:1], v[240:241]
	v_mul_f64 v[0:1], v[206:207], s[46:47]
	v_add_f64 v[182:183], v[4:5], v[222:223]
	v_fma_f64 v[4:5], s[38:39], v[192:193], v[2:3]
	v_fma_f64 v[2:3], v[194:195], s[24:25], -v[0:1]
	v_add_f64 v[148:149], v[2:3], v[242:243]
	v_mul_f64 v[2:3], v[204:205], s[46:47]
	v_fmac_f64_e32 v[0:1], s[24:25], v[194:195]
	v_add_f64 v[144:145], v[0:1], v[218:219]
	v_fma_f64 v[0:1], v[192:193], s[24:25], -v[2:3]
	v_add_f64 v[146:147], v[0:1], v[216:217]
	v_mul_f64 v[0:1], v[206:207], s[30:31]
	v_add_f64 v[142:143], v[4:5], v[234:235]
	v_fma_f64 v[4:5], s[24:25], v[192:193], v[2:3]
	v_fma_f64 v[2:3], v[194:195], s[34:35], -v[0:1]
	v_add_f64 v[156:157], v[2:3], v[156:157]
	;; [unrolled: 10-line block ×5, first 2 shown]
	v_mul_f64 v[2:3], v[204:205], s[42:43]
	v_fmac_f64_e32 v[0:1], s[12:13], v[194:195]
	v_add_f64 v[174:175], v[4:5], v[174:175]
	v_fma_f64 v[4:5], s[12:13], v[192:193], v[2:3]
	v_add_f64 v[210:211], v[0:1], v[210:211]
	v_fma_f64 v[0:1], v[192:193], s[12:13], -v[2:3]
	v_add_f64 v[216:217], v[4:5], v[212:213]
	v_add_f64 v[212:213], v[0:1], v[208:209]
	v_mul_f64 v[0:1], v[206:207], s[8:9]
	v_fma_f64 v[2:3], v[194:195], s[16:17], -v[0:1]
	v_add_f64 v[218:219], v[2:3], v[202:203]
	v_mul_f64 v[2:3], v[204:205], s[8:9]
	v_fma_f64 v[4:5], s[16:17], v[192:193], v[2:3]
	v_fmac_f64_e32 v[0:1], s[16:17], v[194:195]
	v_add_f64 v[220:221], v[4:5], v[200:201]
	v_add_f64 v[200:201], v[0:1], v[190:191]
	v_fma_f64 v[0:1], v[192:193], s[16:17], -v[2:3]
	v_add_f64 v[202:203], v[0:1], v[188:189]
	v_mul_f64 v[0:1], v[206:207], s[54:55]
	v_fma_f64 v[2:3], v[194:195], s[2:3], -v[0:1]
	v_add_f64 v[186:187], v[2:3], v[186:187]
	v_mul_f64 v[2:3], v[204:205], s[54:55]
	v_fmac_f64_e32 v[0:1], s[2:3], v[194:195]
	v_fma_f64 v[4:5], s[2:3], v[192:193], v[2:3]
	v_add_f64 v[180:181], v[0:1], v[180:181]
	v_fma_f64 v[0:1], v[192:193], s[2:3], -v[2:3]
	v_add_f64 v[188:189], v[4:5], v[182:183]
	v_add_f64 v[182:183], v[0:1], v[178:179]
	ds_write_b128 v239, v[132:135]
	ds_write_b128 v239, v[140:143] offset:272
	ds_write_b128 v239, v[148:151] offset:544
	;; [unrolled: 1-line block ×16, first 2 shown]
	s_waitcnt lgkmcnt(0)
	s_barrier
	global_load_dwordx4 v[152:155], v[176:177], off offset:528
	v_lshl_add_u64 v[186:187], v[184:185], 0, s[10:11]
	global_load_dwordx4 v[148:151], v[186:187], off offset:272
	global_load_dwordx4 v[140:143], v[186:187], off offset:544
	;; [unrolled: 1-line block ×11, first 2 shown]
	ds_read_b128 v[188:191], v239
	ds_read_b128 v[192:195], v239 offset:272
	global_load_dwordx4 v[180:183], v[186:187], off offset:3264
	s_movk_i32 s10, 0x2000
	s_waitcnt vmcnt(12) lgkmcnt(1)
	v_mul_f64 v[0:1], v[190:191], v[154:155]
	v_mul_f64 v[202:203], v[188:189], v[154:155]
	v_fma_f64 v[200:201], v[188:189], v[152:153], -v[0:1]
	v_fmac_f64_e32 v[202:203], v[190:191], v[152:153]
	global_load_dwordx4 v[152:155], v[186:187], off offset:3536
	s_waitcnt vmcnt(12) lgkmcnt(0)
	v_mul_f64 v[0:1], v[194:195], v[150:151]
	v_mul_f64 v[190:191], v[192:193], v[150:151]
	ds_write_b128 v239, v[200:203]
	v_fma_f64 v[188:189], v[192:193], v[148:149], -v[0:1]
	ds_read_b128 v[200:203], v239 offset:544
	v_fmac_f64_e32 v[190:191], v[194:195], v[148:149]
	ds_read_b128 v[148:151], v239 offset:816
	ds_write_b128 v239, v[188:191] offset:272
	global_load_dwordx4 v[188:191], v[186:187], off offset:3808
	s_waitcnt vmcnt(12) lgkmcnt(2)
	v_mul_f64 v[0:1], v[202:203], v[142:143]
	v_fma_f64 v[192:193], v[200:201], v[140:141], -v[0:1]
	v_mul_f64 v[194:195], v[200:201], v[142:143]
	v_add_co_u32_e32 v0, vcc, s10, v184
	v_fmac_f64_e32 v[194:195], v[202:203], v[140:141]
	global_load_dwordx4 v[140:143], v[186:187], off offset:4080
	v_addc_co_u32_e32 v1, vcc, 0, v185, vcc
	global_load_dwordx4 v[184:187], v[0:1], off offset:784
	ds_read_b128 v[200:203], v239 offset:1088
	ds_write_b128 v239, v[192:195] offset:544
	s_waitcnt vmcnt(13) lgkmcnt(3)
	v_mul_f64 v[0:1], v[150:151], v[134:135]
	v_mul_f64 v[194:195], v[148:149], v[134:135]
	v_fma_f64 v[192:193], v[148:149], v[132:133], -v[0:1]
	v_fmac_f64_e32 v[194:195], v[150:151], v[132:133]
	ds_read_b128 v[132:135], v239 offset:1360
	s_waitcnt vmcnt(12) lgkmcnt(2)
	v_mul_f64 v[0:1], v[202:203], v[138:139]
	v_mul_f64 v[150:151], v[200:201], v[138:139]
	v_fma_f64 v[148:149], v[200:201], v[136:137], -v[0:1]
	v_fmac_f64_e32 v[150:151], v[202:203], v[136:137]
	ds_write_b128 v239, v[148:151] offset:1088
	ds_read_b128 v[148:151], v239 offset:1632
	s_waitcnt vmcnt(11) lgkmcnt(2)
	v_mul_f64 v[0:1], v[134:135], v[146:147]
	v_mul_f64 v[138:139], v[132:133], v[146:147]
	v_fma_f64 v[136:137], v[132:133], v[144:145], -v[0:1]
	v_fmac_f64_e32 v[138:139], v[134:135], v[144:145]
	ds_read_b128 v[132:135], v239 offset:1904
	ds_read_b128 v[144:147], v239 offset:2176
	ds_write_b128 v239, v[136:139] offset:1360
	s_waitcnt vmcnt(10) lgkmcnt(3)
	v_mul_f64 v[0:1], v[150:151], v[158:159]
	v_mul_f64 v[138:139], v[148:149], v[158:159]
	v_fma_f64 v[136:137], v[148:149], v[156:157], -v[0:1]
	v_fmac_f64_e32 v[138:139], v[150:151], v[156:157]
	ds_write_b128 v239, v[136:139] offset:1632
	s_waitcnt vmcnt(9) lgkmcnt(3)
	v_mul_f64 v[0:1], v[134:135], v[162:163]
	v_mul_f64 v[138:139], v[132:133], v[162:163]
	v_fma_f64 v[136:137], v[132:133], v[160:161], -v[0:1]
	v_fmac_f64_e32 v[138:139], v[134:135], v[160:161]
	ds_read_b128 v[132:135], v239 offset:2448
	ds_write_b128 v239, v[136:139] offset:1904
	s_waitcnt vmcnt(8) lgkmcnt(4)
	v_mul_f64 v[0:1], v[146:147], v[166:167]
	v_mul_f64 v[138:139], v[144:145], v[166:167]
	v_fma_f64 v[136:137], v[144:145], v[164:165], -v[0:1]
	v_fmac_f64_e32 v[138:139], v[146:147], v[164:165]
	ds_read_b128 v[144:147], v239 offset:2720
	;; [unrolled: 7-line block ×7, first 2 shown]
	ds_write_b128 v239, v[136:139] offset:3536
	ds_write_b128 v239, v[192:195] offset:816
	s_waitcnt vmcnt(2) lgkmcnt(4)
	v_mul_f64 v[0:1], v[146:147], v[190:191]
	v_mul_f64 v[138:139], v[144:145], v[190:191]
	v_fma_f64 v[136:137], v[144:145], v[188:189], -v[0:1]
	v_fmac_f64_e32 v[138:139], v[146:147], v[188:189]
	ds_write_b128 v239, v[136:139] offset:3808
	ds_read_b128 v[136:139], v239 offset:4352
	s_waitcnt vmcnt(1) lgkmcnt(4)
	v_mul_f64 v[0:1], v[134:135], v[142:143]
	v_mul_f64 v[146:147], v[132:133], v[142:143]
	v_fma_f64 v[144:145], v[132:133], v[140:141], -v[0:1]
	v_fmac_f64_e32 v[146:147], v[134:135], v[140:141]
	s_waitcnt vmcnt(0) lgkmcnt(0)
	v_mul_f64 v[0:1], v[138:139], v[186:187]
	v_mul_f64 v[134:135], v[136:137], v[186:187]
	v_fma_f64 v[132:133], v[136:137], v[184:185], -v[0:1]
	v_fmac_f64_e32 v[134:135], v[138:139], v[184:185]
	ds_write_b128 v239, v[144:147] offset:4080
	ds_write_b128 v239, v[132:135] offset:4352
	s_waitcnt lgkmcnt(0)
	s_barrier
	ds_read_b128 v[160:163], v239
	ds_read_b128 v[204:207], v239 offset:272
	ds_read_b128 v[188:191], v239 offset:544
	;; [unrolled: 1-line block ×16, first 2 shown]
	s_waitcnt lgkmcnt(14)
	v_add_f64 v[0:1], v[160:161], v[204:205]
	v_add_f64 v[0:1], v[0:1], v[188:189]
	;; [unrolled: 1-line block ×3, first 2 shown]
	s_waitcnt lgkmcnt(13)
	v_add_f64 v[0:1], v[0:1], v[180:181]
	v_add_f64 v[2:3], v[2:3], v[190:191]
	s_waitcnt lgkmcnt(12)
	v_add_f64 v[0:1], v[0:1], v[172:173]
	v_add_f64 v[2:3], v[2:3], v[182:183]
	;; [unrolled: 3-line block ×12, first 2 shown]
	s_waitcnt lgkmcnt(1)
	v_add_f64 v[0:1], v[0:1], v[192:193]
	s_waitcnt lgkmcnt(0)
	v_add_f64 v[224:225], v[206:207], -v[210:211]
	v_add_f64 v[2:3], v[2:3], v[186:187]
	v_add_f64 v[132:133], v[0:1], v[208:209]
	;; [unrolled: 1-line block ×3, first 2 shown]
	v_mul_f64 v[0:1], v[224:225], s[22:23]
	v_add_f64 v[2:3], v[2:3], v[194:195]
	v_add_f64 v[202:203], v[206:207], v[210:211]
	v_add_f64 v[200:201], v[204:205], -v[208:209]
	v_fma_f64 v[206:207], s[24:25], v[220:221], v[0:1]
	v_fma_f64 v[208:209], v[220:221], s[24:25], -v[0:1]
	v_mul_f64 v[0:1], v[224:225], s[18:19]
	v_add_f64 v[134:135], v[2:3], v[210:211]
	v_fma_f64 v[210:211], s[20:21], v[220:221], v[0:1]
	v_fma_f64 v[212:213], v[220:221], s[20:21], -v[0:1]
	v_mul_f64 v[0:1], v[224:225], s[14:15]
	v_fma_f64 v[214:215], s[12:13], v[220:221], v[0:1]
	v_fma_f64 v[216:217], v[220:221], s[12:13], -v[0:1]
	v_mul_f64 v[0:1], v[224:225], s[6:7]
	;; [unrolled: 3-line block ×4, first 2 shown]
	v_mul_f64 v[204:205], v[202:203], s[24:25]
	v_fma_f64 v[230:231], s[28:29], v[220:221], v[0:1]
	v_fma_f64 v[232:233], v[220:221], s[28:29], -v[0:1]
	v_add_f64 v[236:237], v[190:191], v[194:195]
	v_add_f64 v[190:191], v[190:191], -v[194:195]
	v_add_f64 v[194:195], v[182:183], v[186:187]
	v_add_f64 v[182:183], v[182:183], -v[186:187]
	;; [unrolled: 2-line block ×4, first 2 shown]
	v_mul_f64 v[0:1], v[224:225], s[30:31]
	v_mul_f64 v[4:5], v[224:225], s[36:37]
	;; [unrolled: 1-line block ×9, first 2 shown]
	v_add_f64 v[234:235], v[188:189], v[192:193]
	v_add_f64 v[188:189], v[188:189], -v[192:193]
	v_add_f64 v[192:193], v[180:181], v[184:185]
	v_add_f64 v[180:181], v[180:181], -v[184:185]
	v_add_f64 v[184:185], v[172:173], v[176:177]
	v_add_f64 v[172:173], v[172:173], -v[176:177]
	v_add_f64 v[176:177], v[164:165], v[168:169]
	v_add_f64 v[164:165], v[164:165], -v[168:169]
	v_fma_f64 v[2:3], s[34:35], v[220:221], v[0:1]
	v_fma_f64 v[0:1], v[220:221], s[34:35], -v[0:1]
	v_fma_f64 v[6:7], s[38:39], v[220:221], v[4:5]
	v_fma_f64 v[4:5], v[220:221], s[38:39], -v[4:5]
	v_fma_f64 v[8:9], s[46:47], v[200:201], v[204:205]
	v_fmac_f64_e32 v[204:205], s[22:23], v[200:201]
	v_fma_f64 v[12:13], s[48:49], v[200:201], v[10:11]
	v_fmac_f64_e32 v[10:11], s[18:19], v[200:201]
	;; [unrolled: 2-line block ×8, first 2 shown]
	v_add_f64 v[200:201], v[160:161], v[206:207]
	v_add_f64 v[8:9], v[162:163], v[8:9]
	;; [unrolled: 1-line block ×32, first 2 shown]
	v_mul_f64 v[162:163], v[190:191], s[18:19]
	v_fma_f64 v[202:203], s[20:21], v[234:235], v[162:163]
	v_add_f64 v[200:201], v[202:203], v[200:201]
	v_mul_f64 v[202:203], v[236:237], s[20:21]
	v_fma_f64 v[250:251], s[48:49], v[188:189], v[202:203]
	v_fmac_f64_e32 v[202:203], s[18:19], v[188:189]
	v_fma_f64 v[162:163], v[234:235], s[20:21], -v[162:163]
	v_add_f64 v[202:203], v[202:203], v[204:205]
	v_mul_f64 v[204:205], v[190:191], s[6:7]
	v_add_f64 v[162:163], v[162:163], v[206:207]
	v_fma_f64 v[206:207], s[2:3], v[234:235], v[204:205]
	v_add_f64 v[206:207], v[206:207], v[208:209]
	v_mul_f64 v[208:209], v[236:237], s[2:3]
	v_add_f64 v[8:9], v[250:251], v[8:9]
	v_fma_f64 v[250:251], s[54:55], v[188:189], v[208:209]
	v_fmac_f64_e32 v[208:209], s[6:7], v[188:189]
	v_fma_f64 v[204:205], v[234:235], s[2:3], -v[204:205]
	v_add_f64 v[10:11], v[208:209], v[10:11]
	v_mul_f64 v[208:209], v[190:191], s[26:27]
	v_add_f64 v[204:205], v[204:205], v[210:211]
	v_fma_f64 v[210:211], s[28:29], v[234:235], v[208:209]
	v_add_f64 v[210:211], v[210:211], v[212:213]
	v_mul_f64 v[212:213], v[236:237], s[28:29]
	v_add_f64 v[12:13], v[250:251], v[12:13]
	;; [unrolled: 10-line block ×4, first 2 shown]
	v_fma_f64 v[250:251], s[30:31], v[188:189], v[222:223]
	v_fmac_f64_e32 v[222:223], s[44:45], v[188:189]
	v_fma_f64 v[216:217], v[234:235], s[34:35], -v[216:217]
	v_add_f64 v[222:223], v[222:223], v[224:225]
	v_mul_f64 v[224:225], v[190:191], s[40:41]
	v_add_f64 v[216:217], v[216:217], v[228:229]
	v_fma_f64 v[228:229], s[16:17], v[234:235], v[224:225]
	v_add_f64 v[228:229], v[228:229], v[230:231]
	v_mul_f64 v[230:231], v[236:237], s[16:17]
	v_fma_f64 v[224:225], v[234:235], s[16:17], -v[224:225]
	v_add_f64 v[226:227], v[250:251], v[226:227]
	v_fma_f64 v[250:251], s[8:9], v[188:189], v[230:231]
	v_add_f64 v[224:225], v[224:225], v[232:233]
	v_fmac_f64_e32 v[230:231], s[40:41], v[188:189]
	v_mul_f64 v[232:233], v[190:191], s[42:43]
	v_add_f64 v[230:231], v[230:231], v[242:243]
	v_fma_f64 v[242:243], s[12:13], v[234:235], v[232:233]
	v_add_f64 v[2:3], v[242:243], v[2:3]
	v_mul_f64 v[242:243], v[236:237], s[12:13]
	v_add_f64 v[240:241], v[250:251], v[240:241]
	v_fma_f64 v[250:251], s[14:15], v[188:189], v[242:243]
	v_fma_f64 v[232:233], v[234:235], s[12:13], -v[232:233]
	v_fmac_f64_e32 v[242:243], s[42:43], v[188:189]
	v_mul_f64 v[190:191], v[190:191], s[46:47]
	v_add_f64 v[0:1], v[232:233], v[0:1]
	v_add_f64 v[232:233], v[242:243], v[246:247]
	v_fma_f64 v[242:243], s[24:25], v[234:235], v[190:191]
	v_mul_f64 v[236:237], v[236:237], s[24:25]
	v_add_f64 v[6:7], v[242:243], v[6:7]
	v_fma_f64 v[242:243], s[22:23], v[188:189], v[236:237]
	v_fma_f64 v[190:191], v[234:235], s[24:25], -v[190:191]
	v_fmac_f64_e32 v[236:237], s[46:47], v[188:189]
	v_mul_f64 v[188:189], v[182:183], s[14:15]
	v_add_f64 v[4:5], v[190:191], v[4:5]
	v_fma_f64 v[190:191], s[12:13], v[192:193], v[188:189]
	v_add_f64 v[190:191], v[190:191], v[200:201]
	v_mul_f64 v[200:201], v[194:195], s[12:13]
	v_fma_f64 v[234:235], s[42:43], v[180:181], v[200:201]
	v_fma_f64 v[188:189], v[192:193], s[12:13], -v[188:189]
	v_fmac_f64_e32 v[200:201], s[14:15], v[180:181]
	v_add_f64 v[162:163], v[188:189], v[162:163]
	v_add_f64 v[188:189], v[200:201], v[202:203]
	v_mul_f64 v[200:201], v[182:183], s[26:27]
	v_fma_f64 v[202:203], s[28:29], v[192:193], v[200:201]
	v_add_f64 v[202:203], v[202:203], v[206:207]
	v_mul_f64 v[206:207], v[194:195], s[28:29]
	v_fma_f64 v[200:201], v[192:193], s[28:29], -v[200:201]
	v_add_f64 v[8:9], v[234:235], v[8:9]
	v_fma_f64 v[234:235], s[52:53], v[180:181], v[206:207]
	v_add_f64 v[200:201], v[200:201], v[204:205]
	v_fmac_f64_e32 v[206:207], s[26:27], v[180:181]
	v_mul_f64 v[204:205], v[182:183], s[50:51]
	v_add_f64 v[10:11], v[206:207], v[10:11]
	v_fma_f64 v[206:207], s[38:39], v[192:193], v[204:205]
	v_add_f64 v[206:207], v[206:207], v[210:211]
	v_mul_f64 v[210:211], v[194:195], s[38:39]
	v_fma_f64 v[204:205], v[192:193], s[38:39], -v[204:205]
	v_add_f64 v[12:13], v[234:235], v[12:13]
	v_fma_f64 v[234:235], s[36:37], v[180:181], v[210:211]
	v_add_f64 v[204:205], v[204:205], v[208:209]
	v_fmac_f64_e32 v[210:211], s[50:51], v[180:181]
	v_mul_f64 v[208:209], v[182:183], s[40:41]
	v_add_f64 v[14:15], v[210:211], v[14:15]
	;; [unrolled: 10-line block ×3, first 2 shown]
	v_fma_f64 v[214:215], s[20:21], v[192:193], v[212:213]
	v_add_f64 v[214:215], v[214:215], v[220:221]
	v_mul_f64 v[220:221], v[194:195], s[20:21]
	v_add_f64 v[218:219], v[234:235], v[218:219]
	v_fma_f64 v[234:235], s[18:19], v[180:181], v[220:221]
	v_fma_f64 v[212:213], v[192:193], s[20:21], -v[212:213]
	v_fmac_f64_e32 v[220:221], s[48:49], v[180:181]
	v_add_f64 v[212:213], v[212:213], v[216:217]
	v_add_f64 v[216:217], v[220:221], v[222:223]
	v_mul_f64 v[220:221], v[182:183], s[22:23]
	v_fma_f64 v[222:223], s[24:25], v[192:193], v[220:221]
	v_add_f64 v[222:223], v[222:223], v[228:229]
	v_mul_f64 v[228:229], v[194:195], s[24:25]
	v_add_f64 v[226:227], v[234:235], v[226:227]
	v_fma_f64 v[234:235], s[46:47], v[180:181], v[228:229]
	v_fma_f64 v[220:221], v[192:193], s[24:25], -v[220:221]
	v_fmac_f64_e32 v[228:229], s[22:23], v[180:181]
	v_add_f64 v[220:221], v[220:221], v[224:225]
	v_add_f64 v[224:225], v[228:229], v[230:231]
	v_mul_f64 v[228:229], v[182:183], s[6:7]
	v_fma_f64 v[230:231], s[2:3], v[192:193], v[228:229]
	v_add_f64 v[2:3], v[230:231], v[2:3]
	v_mul_f64 v[230:231], v[194:195], s[2:3]
	v_add_f64 v[160:161], v[236:237], v[160:161]
	v_fma_f64 v[236:237], s[54:55], v[180:181], v[230:231]
	v_fma_f64 v[228:229], v[192:193], s[2:3], -v[228:229]
	v_fmac_f64_e32 v[230:231], s[6:7], v[180:181]
	v_mul_f64 v[182:183], v[182:183], s[30:31]
	v_add_f64 v[0:1], v[228:229], v[0:1]
	v_add_f64 v[228:229], v[230:231], v[232:233]
	v_fma_f64 v[230:231], s[34:35], v[192:193], v[182:183]
	v_mul_f64 v[194:195], v[194:195], s[34:35]
	v_add_f64 v[6:7], v[230:231], v[6:7]
	v_fma_f64 v[230:231], s[44:45], v[180:181], v[194:195]
	v_fma_f64 v[182:183], v[192:193], s[34:35], -v[182:183]
	v_fmac_f64_e32 v[194:195], s[30:31], v[180:181]
	v_mul_f64 v[180:181], v[174:175], s[6:7]
	v_add_f64 v[4:5], v[182:183], v[4:5]
	v_fma_f64 v[182:183], s[2:3], v[184:185], v[180:181]
	v_add_f64 v[182:183], v[182:183], v[190:191]
	v_mul_f64 v[190:191], v[186:187], s[2:3]
	v_fma_f64 v[192:193], s[54:55], v[172:173], v[190:191]
	v_add_f64 v[8:9], v[192:193], v[8:9]
	v_fma_f64 v[180:181], v[184:185], s[2:3], -v[180:181]
	v_fmac_f64_e32 v[190:191], s[6:7], v[172:173]
	v_mul_f64 v[192:193], v[186:187], s[38:39]
	v_add_f64 v[160:161], v[194:195], v[160:161]
	v_add_f64 v[162:163], v[180:181], v[162:163]
	;; [unrolled: 1-line block ×3, first 2 shown]
	v_mul_f64 v[188:189], v[174:175], s[36:37]
	v_fma_f64 v[194:195], s[50:51], v[172:173], v[192:193]
	v_fmac_f64_e32 v[192:193], s[36:37], v[172:173]
	v_fma_f64 v[190:191], s[38:39], v[184:185], v[188:189]
	v_fma_f64 v[188:189], v[184:185], s[38:39], -v[188:189]
	v_add_f64 v[10:11], v[192:193], v[10:11]
	v_mul_f64 v[192:193], v[174:175], s[40:41]
	v_add_f64 v[12:13], v[194:195], v[12:13]
	v_add_f64 v[188:189], v[188:189], v[200:201]
	v_fma_f64 v[194:195], s[16:17], v[184:185], v[192:193]
	v_mul_f64 v[200:201], v[186:187], s[16:17]
	v_fma_f64 v[192:193], v[184:185], s[16:17], -v[192:193]
	v_add_f64 v[190:191], v[190:191], v[202:203]
	v_fma_f64 v[202:203], s[8:9], v[172:173], v[200:201]
	v_add_f64 v[192:193], v[192:193], v[204:205]
	v_fmac_f64_e32 v[200:201], s[40:41], v[172:173]
	v_mul_f64 v[204:205], v[186:187], s[24:25]
	v_add_f64 v[194:195], v[194:195], v[206:207]
	v_add_f64 v[14:15], v[200:201], v[14:15]
	v_mul_f64 v[200:201], v[174:175], s[46:47]
	v_fma_f64 v[206:207], s[22:23], v[172:173], v[204:205]
	v_fmac_f64_e32 v[204:205], s[46:47], v[172:173]
	v_add_f64 v[168:169], v[202:203], v[168:169]
	v_fma_f64 v[202:203], s[24:25], v[184:185], v[200:201]
	v_fma_f64 v[200:201], v[184:185], s[24:25], -v[200:201]
	v_add_f64 v[170:171], v[204:205], v[170:171]
	v_mul_f64 v[204:205], v[174:175], s[14:15]
	v_add_f64 v[202:203], v[202:203], v[210:211]
	v_add_f64 v[200:201], v[200:201], v[208:209]
	v_fma_f64 v[208:209], s[12:13], v[184:185], v[204:205]
	v_mul_f64 v[210:211], v[186:187], s[12:13]
	v_fma_f64 v[204:205], v[184:185], s[12:13], -v[204:205]
	v_add_f64 v[208:209], v[208:209], v[214:215]
	v_fma_f64 v[214:215], s[42:43], v[172:173], v[210:211]
	v_add_f64 v[204:205], v[204:205], v[212:213]
	v_fmac_f64_e32 v[210:211], s[14:15], v[172:173]
	v_mul_f64 v[212:213], v[174:175], s[30:31]
	v_add_f64 v[206:207], v[206:207], v[218:219]
	v_add_f64 v[210:211], v[210:211], v[216:217]
	v_fma_f64 v[216:217], s[34:35], v[184:185], v[212:213]
	v_mul_f64 v[218:219], v[186:187], s[34:35]
	v_fma_f64 v[212:213], v[184:185], s[34:35], -v[212:213]
	v_add_f64 v[216:217], v[216:217], v[222:223]
	v_fma_f64 v[222:223], s[44:45], v[172:173], v[218:219]
	v_add_f64 v[212:213], v[212:213], v[220:221]
	v_fmac_f64_e32 v[218:219], s[30:31], v[172:173]
	v_mul_f64 v[220:221], v[174:175], s[52:53]
	v_add_f64 v[218:219], v[218:219], v[224:225]
	v_fma_f64 v[224:225], s[28:29], v[184:185], v[220:221]
	v_add_f64 v[2:3], v[224:225], v[2:3]
	v_mul_f64 v[224:225], v[186:187], s[28:29]
	v_add_f64 v[214:215], v[214:215], v[226:227]
	v_fma_f64 v[226:227], s[26:27], v[172:173], v[224:225]
	v_fma_f64 v[220:221], v[184:185], s[28:29], -v[220:221]
	v_fmac_f64_e32 v[224:225], s[52:53], v[172:173]
	v_mul_f64 v[174:175], v[174:175], s[48:49]
	v_add_f64 v[0:1], v[220:221], v[0:1]
	v_add_f64 v[220:221], v[224:225], v[228:229]
	v_fma_f64 v[224:225], s[20:21], v[184:185], v[174:175]
	v_mul_f64 v[186:187], v[186:187], s[20:21]
	v_add_f64 v[6:7], v[224:225], v[6:7]
	v_fma_f64 v[224:225], s[18:19], v[172:173], v[186:187]
	v_fma_f64 v[174:175], v[184:185], s[20:21], -v[174:175]
	v_fmac_f64_e32 v[186:187], s[48:49], v[172:173]
	v_mul_f64 v[172:173], v[166:167], s[8:9]
	v_add_f64 v[4:5], v[174:175], v[4:5]
	v_fma_f64 v[174:175], s[16:17], v[176:177], v[172:173]
	v_add_f64 v[174:175], v[174:175], v[182:183]
	v_mul_f64 v[182:183], v[178:179], s[16:17]
	v_fma_f64 v[184:185], s[40:41], v[164:165], v[182:183]
	v_add_f64 v[8:9], v[184:185], v[8:9]
	v_fma_f64 v[172:173], v[176:177], s[16:17], -v[172:173]
	v_fmac_f64_e32 v[182:183], s[8:9], v[164:165]
	v_mul_f64 v[184:185], v[178:179], s[34:35]
	v_add_f64 v[160:161], v[186:187], v[160:161]
	v_add_f64 v[162:163], v[172:173], v[162:163]
	;; [unrolled: 1-line block ×3, first 2 shown]
	v_mul_f64 v[180:181], v[166:167], s[44:45]
	v_fma_f64 v[186:187], s[30:31], v[164:165], v[184:185]
	v_fmac_f64_e32 v[184:185], s[44:45], v[164:165]
	v_fma_f64 v[182:183], s[34:35], v[176:177], v[180:181]
	v_fma_f64 v[180:181], v[176:177], s[34:35], -v[180:181]
	v_add_f64 v[10:11], v[184:185], v[10:11]
	v_mul_f64 v[184:185], v[166:167], s[48:49]
	v_add_f64 v[12:13], v[186:187], v[12:13]
	v_add_f64 v[180:181], v[180:181], v[188:189]
	v_fma_f64 v[186:187], s[20:21], v[176:177], v[184:185]
	v_mul_f64 v[188:189], v[178:179], s[20:21]
	v_fma_f64 v[184:185], v[176:177], s[20:21], -v[184:185]
	v_add_f64 v[182:183], v[182:183], v[190:191]
	v_fma_f64 v[190:191], s[18:19], v[164:165], v[188:189]
	v_add_f64 v[184:185], v[184:185], v[192:193]
	v_fmac_f64_e32 v[188:189], s[48:49], v[164:165]
	v_mul_f64 v[192:193], v[178:179], s[12:13]
	v_add_f64 v[186:187], v[186:187], v[194:195]
	v_add_f64 v[14:15], v[188:189], v[14:15]
	v_mul_f64 v[188:189], v[166:167], s[14:15]
	v_fma_f64 v[194:195], s[42:43], v[164:165], v[192:193]
	v_fmac_f64_e32 v[192:193], s[14:15], v[164:165]
	v_add_f64 v[168:169], v[190:191], v[168:169]
	v_fma_f64 v[190:191], s[12:13], v[176:177], v[188:189]
	v_fma_f64 v[188:189], v[176:177], s[12:13], -v[188:189]
	v_add_f64 v[170:171], v[192:193], v[170:171]
	v_mul_f64 v[192:193], v[166:167], s[36:37]
	v_add_f64 v[188:189], v[188:189], v[200:201]
	v_fma_f64 v[200:201], s[38:39], v[176:177], v[192:193]
	v_fma_f64 v[192:193], v[176:177], s[38:39], -v[192:193]
	v_add_f64 v[192:193], v[192:193], v[204:205]
	v_mul_f64 v[204:205], v[166:167], s[54:55]
	v_add_f64 v[190:191], v[190:191], v[202:203]
	v_add_f64 v[200:201], v[200:201], v[208:209]
	v_mul_f64 v[202:203], v[178:179], s[38:39]
	v_fma_f64 v[208:209], s[2:3], v[176:177], v[204:205]
	v_fma_f64 v[204:205], v[176:177], s[2:3], -v[204:205]
	v_add_f64 v[194:195], v[194:195], v[206:207]
	v_fma_f64 v[206:207], s[50:51], v[164:165], v[202:203]
	v_fmac_f64_e32 v[202:203], s[36:37], v[164:165]
	v_add_f64 v[204:205], v[204:205], v[212:213]
	v_mul_f64 v[212:213], v[166:167], s[22:23]
	v_add_f64 v[202:203], v[202:203], v[210:211]
	v_add_f64 v[208:209], v[208:209], v[216:217]
	v_mul_f64 v[210:211], v[178:179], s[2:3]
	v_fma_f64 v[216:217], s[24:25], v[176:177], v[212:213]
	v_add_f64 v[206:207], v[206:207], v[214:215]
	v_fma_f64 v[214:215], s[6:7], v[164:165], v[210:211]
	v_fmac_f64_e32 v[210:211], s[54:55], v[164:165]
	v_add_f64 v[2:3], v[216:217], v[2:3]
	v_mul_f64 v[216:217], v[178:179], s[24:25]
	v_add_f64 v[210:211], v[210:211], v[218:219]
	v_fma_f64 v[218:219], s[46:47], v[164:165], v[216:217]
	v_fma_f64 v[212:213], v[176:177], s[24:25], -v[212:213]
	v_fmac_f64_e32 v[216:217], s[22:23], v[164:165]
	v_mul_f64 v[166:167], v[166:167], s[26:27]
	v_add_f64 v[0:1], v[212:213], v[0:1]
	v_add_f64 v[212:213], v[216:217], v[220:221]
	v_fma_f64 v[216:217], s[28:29], v[176:177], v[166:167]
	v_fma_f64 v[166:167], v[176:177], s[28:29], -v[166:167]
	v_mul_f64 v[178:179], v[178:179], s[28:29]
	v_add_f64 v[4:5], v[166:167], v[4:5]
	v_add_f64 v[166:167], v[154:155], v[158:159]
	v_add_f64 v[154:155], v[154:155], -v[158:159]
	v_add_f64 v[6:7], v[216:217], v[6:7]
	v_fma_f64 v[216:217], s[52:53], v[164:165], v[178:179]
	v_fmac_f64_e32 v[178:179], s[26:27], v[164:165]
	v_add_f64 v[164:165], v[152:153], v[156:157]
	v_add_f64 v[152:153], v[152:153], -v[156:157]
	v_mul_f64 v[156:157], v[154:155], s[26:27]
	v_fma_f64 v[158:159], s[28:29], v[164:165], v[156:157]
	v_add_f64 v[158:159], v[158:159], v[174:175]
	v_mul_f64 v[174:175], v[166:167], s[28:29]
	v_fma_f64 v[176:177], s[52:53], v[152:153], v[174:175]
	v_add_f64 v[8:9], v[176:177], v[8:9]
	v_fma_f64 v[156:157], v[164:165], s[28:29], -v[156:157]
	v_fmac_f64_e32 v[174:175], s[26:27], v[152:153]
	v_mul_f64 v[176:177], v[166:167], s[16:17]
	v_add_f64 v[160:161], v[178:179], v[160:161]
	v_add_f64 v[156:157], v[156:157], v[162:163]
	;; [unrolled: 1-line block ×3, first 2 shown]
	v_mul_f64 v[172:173], v[154:155], s[40:41]
	v_fma_f64 v[178:179], s[8:9], v[152:153], v[176:177]
	v_fmac_f64_e32 v[176:177], s[40:41], v[152:153]
	v_fma_f64 v[174:175], s[16:17], v[164:165], v[172:173]
	v_fma_f64 v[172:173], v[164:165], s[16:17], -v[172:173]
	v_add_f64 v[10:11], v[176:177], v[10:11]
	v_mul_f64 v[176:177], v[154:155], s[22:23]
	v_add_f64 v[12:13], v[178:179], v[12:13]
	v_add_f64 v[172:173], v[172:173], v[180:181]
	v_fma_f64 v[178:179], s[24:25], v[164:165], v[176:177]
	v_mul_f64 v[180:181], v[166:167], s[24:25]
	v_fma_f64 v[176:177], v[164:165], s[24:25], -v[176:177]
	v_add_f64 v[174:175], v[174:175], v[182:183]
	v_fma_f64 v[182:183], s[46:47], v[152:153], v[180:181]
	v_add_f64 v[176:177], v[176:177], v[184:185]
	v_fmac_f64_e32 v[180:181], s[22:23], v[152:153]
	v_mul_f64 v[184:185], v[166:167], s[34:35]
	v_add_f64 v[178:179], v[178:179], v[186:187]
	v_add_f64 v[14:15], v[180:181], v[14:15]
	v_mul_f64 v[180:181], v[154:155], s[30:31]
	v_fma_f64 v[186:187], s[44:45], v[152:153], v[184:185]
	v_fmac_f64_e32 v[184:185], s[30:31], v[152:153]
	v_add_f64 v[168:169], v[182:183], v[168:169]
	v_fma_f64 v[182:183], s[34:35], v[164:165], v[180:181]
	v_fma_f64 v[180:181], v[164:165], s[34:35], -v[180:181]
	v_add_f64 v[170:171], v[184:185], v[170:171]
	v_mul_f64 v[184:185], v[154:155], s[54:55]
	v_add_f64 v[180:181], v[180:181], v[188:189]
	v_fma_f64 v[188:189], s[2:3], v[164:165], v[184:185]
	v_fma_f64 v[184:185], v[164:165], s[2:3], -v[184:185]
	v_add_f64 v[184:185], v[184:185], v[192:193]
	v_mul_f64 v[192:193], v[154:155], s[18:19]
	v_add_f64 v[182:183], v[182:183], v[190:191]
	v_add_f64 v[188:189], v[188:189], v[200:201]
	v_mul_f64 v[190:191], v[166:167], s[2:3]
	v_fma_f64 v[200:201], s[20:21], v[164:165], v[192:193]
	v_fma_f64 v[192:193], v[164:165], s[20:21], -v[192:193]
	v_add_f64 v[244:245], v[250:251], v[244:245]
	v_add_f64 v[234:235], v[234:235], v[240:241]
	;; [unrolled: 1-line block ×3, first 2 shown]
	v_fma_f64 v[194:195], s[6:7], v[152:153], v[190:191]
	v_fmac_f64_e32 v[190:191], s[54:55], v[152:153]
	v_add_f64 v[192:193], v[192:193], v[204:205]
	v_mul_f64 v[204:205], v[154:155], s[36:37]
	v_add_f64 v[242:243], v[242:243], v[248:249]
	v_add_f64 v[236:237], v[236:237], v[244:245]
	;; [unrolled: 1-line block ×5, first 2 shown]
	v_mul_f64 v[202:203], v[166:167], s[20:21]
	v_fma_f64 v[208:209], s[38:39], v[164:165], v[204:205]
	v_add_f64 v[234:235], v[146:147], -v[150:151]
	v_add_f64 v[230:231], v[230:231], v[242:243]
	v_add_f64 v[226:227], v[226:227], v[236:237]
	;; [unrolled: 1-line block ×3, first 2 shown]
	v_fma_f64 v[206:207], s[48:49], v[152:153], v[202:203]
	v_fmac_f64_e32 v[202:203], s[18:19], v[152:153]
	v_add_f64 v[2:3], v[208:209], v[2:3]
	v_mul_f64 v[208:209], v[166:167], s[38:39]
	v_add_f64 v[228:229], v[144:145], v[148:149]
	v_add_f64 v[232:233], v[144:145], -v[148:149]
	v_mul_f64 v[144:145], v[234:235], s[30:31]
	v_add_f64 v[224:225], v[224:225], v[230:231]
	v_add_f64 v[218:219], v[218:219], v[226:227]
	;; [unrolled: 1-line block ×3, first 2 shown]
	v_fma_f64 v[210:211], s[50:51], v[152:153], v[208:209]
	v_fma_f64 v[204:205], v[164:165], s[38:39], -v[204:205]
	v_mul_f64 v[154:155], v[154:155], s[42:43]
	v_add_f64 v[230:231], v[146:147], v[150:151]
	v_fma_f64 v[146:147], s[34:35], v[228:229], v[144:145]
	v_add_f64 v[220:221], v[210:211], v[218:219]
	v_add_f64 v[0:1], v[204:205], v[0:1]
	v_fma_f64 v[204:205], s[12:13], v[164:165], v[154:155]
	v_mul_f64 v[166:167], v[166:167], s[12:13]
	v_add_f64 v[218:219], v[146:147], v[158:159]
	v_mul_f64 v[146:147], v[230:231], s[34:35]
	v_add_f64 v[216:217], v[216:217], v[224:225]
	v_add_f64 v[6:7], v[204:205], v[6:7]
	v_fma_f64 v[204:205], s[14:15], v[152:153], v[166:167]
	v_fma_f64 v[148:149], s[44:45], v[232:233], v[146:147]
	v_add_f64 v[214:215], v[214:215], v[222:223]
	v_add_f64 v[224:225], v[204:205], v[216:217]
	;; [unrolled: 1-line block ×3, first 2 shown]
	v_fma_f64 v[8:9], v[228:229], s[34:35], -v[144:145]
	v_add_f64 v[206:207], v[206:207], v[214:215]
	v_fmac_f64_e32 v[208:209], s[36:37], v[152:153]
	v_add_f64 v[214:215], v[8:9], v[156:157]
	v_fmac_f64_e32 v[146:147], s[30:31], v[232:233]
	v_mul_f64 v[8:9], v[234:235], s[42:43]
	v_add_f64 v[222:223], v[208:209], v[212:213]
	v_add_f64 v[212:213], v[146:147], v[162:163]
	v_fma_f64 v[144:145], s[12:13], v[228:229], v[8:9]
	v_mul_f64 v[146:147], v[230:231], s[12:13]
	v_add_f64 v[148:149], v[144:145], v[174:175]
	v_fma_f64 v[144:145], s[14:15], v[232:233], v[146:147]
	v_fma_f64 v[8:9], v[228:229], s[12:13], -v[8:9]
	v_add_f64 v[150:151], v[144:145], v[12:13]
	v_add_f64 v[144:145], v[8:9], v[172:173]
	v_fmac_f64_e32 v[146:147], s[42:43], v[232:233]
	v_mul_f64 v[8:9], v[234:235], s[6:7]
	v_add_f64 v[146:147], v[146:147], v[10:11]
	v_fma_f64 v[10:11], s[2:3], v[228:229], v[8:9]
	v_add_f64 v[156:157], v[10:11], v[178:179]
	v_mul_f64 v[10:11], v[230:231], s[2:3]
	v_fma_f64 v[8:9], v[228:229], s[2:3], -v[8:9]
	v_fma_f64 v[154:155], v[164:165], s[12:13], -v[154:155]
	v_fmac_f64_e32 v[166:167], s[42:43], v[152:153]
	v_fma_f64 v[12:13], s[54:55], v[232:233], v[10:11]
	v_add_f64 v[152:153], v[8:9], v[176:177]
	v_fmac_f64_e32 v[10:11], s[6:7], v[232:233]
	v_mul_f64 v[8:9], v[234:235], s[52:53]
	v_add_f64 v[4:5], v[154:155], v[4:5]
	v_add_f64 v[154:155], v[10:11], v[14:15]
	v_fma_f64 v[10:11], s[28:29], v[228:229], v[8:9]
	v_add_f64 v[164:165], v[10:11], v[182:183]
	v_mul_f64 v[10:11], v[230:231], s[28:29]
	v_fma_f64 v[8:9], v[228:229], s[28:29], -v[8:9]
	v_add_f64 v[226:227], v[166:167], v[160:161]
	v_add_f64 v[158:159], v[12:13], v[168:169]
	v_fma_f64 v[12:13], s[26:27], v[232:233], v[10:11]
	v_add_f64 v[160:161], v[8:9], v[180:181]
	v_fmac_f64_e32 v[10:11], s[52:53], v[232:233]
	v_mul_f64 v[8:9], v[234:235], s[22:23]
	v_add_f64 v[162:163], v[10:11], v[170:171]
	v_fma_f64 v[10:11], s[24:25], v[228:229], v[8:9]
	v_add_f64 v[172:173], v[10:11], v[188:189]
	v_mul_f64 v[10:11], v[230:231], s[24:25]
	v_fma_f64 v[8:9], v[228:229], s[24:25], -v[8:9]
	v_add_f64 v[166:167], v[12:13], v[186:187]
	v_fma_f64 v[12:13], s[46:47], v[232:233], v[10:11]
	v_add_f64 v[168:169], v[8:9], v[184:185]
	v_fmac_f64_e32 v[10:11], s[22:23], v[232:233]
	v_mul_f64 v[8:9], v[234:235], s[36:37]
	v_add_f64 v[170:171], v[10:11], v[190:191]
	v_fma_f64 v[10:11], s[38:39], v[228:229], v[8:9]
	v_add_f64 v[210:211], v[10:11], v[200:201]
	v_mul_f64 v[10:11], v[230:231], s[38:39]
	v_add_f64 v[174:175], v[12:13], v[194:195]
	v_fma_f64 v[12:13], s[50:51], v[232:233], v[10:11]
	v_fma_f64 v[8:9], v[228:229], s[38:39], -v[8:9]
	v_add_f64 v[208:209], v[12:13], v[206:207]
	v_add_f64 v[206:207], v[8:9], v[192:193]
	v_fmac_f64_e32 v[10:11], s[36:37], v[232:233]
	v_mul_f64 v[8:9], v[234:235], s[48:49]
	v_add_f64 v[204:205], v[10:11], v[202:203]
	v_fma_f64 v[10:11], s[20:21], v[228:229], v[8:9]
	v_add_f64 v[194:195], v[10:11], v[2:3]
	v_mul_f64 v[2:3], v[230:231], s[20:21]
	v_fma_f64 v[8:9], v[228:229], s[20:21], -v[8:9]
	v_fma_f64 v[10:11], s[18:19], v[232:233], v[2:3]
	v_add_f64 v[186:187], v[8:9], v[0:1]
	v_fmac_f64_e32 v[2:3], s[48:49], v[232:233]
	v_mul_f64 v[0:1], v[234:235], s[8:9]
	v_add_f64 v[184:185], v[2:3], v[222:223]
	v_fma_f64 v[2:3], s[16:17], v[228:229], v[0:1]
	v_add_f64 v[182:183], v[2:3], v[6:7]
	v_mul_f64 v[2:3], v[230:231], s[16:17]
	v_fma_f64 v[0:1], v[228:229], s[16:17], -v[0:1]
	v_add_f64 v[202:203], v[138:139], -v[142:143]
	v_fma_f64 v[6:7], s[40:41], v[232:233], v[2:3]
	v_add_f64 v[178:179], v[0:1], v[4:5]
	v_fmac_f64_e32 v[2:3], s[8:9], v[232:233]
	v_add_f64 v[190:191], v[136:137], v[140:141]
	v_mul_f64 v[0:1], v[202:203], s[36:37]
	v_add_f64 v[176:177], v[2:3], v[226:227]
	v_add_f64 v[200:201], v[138:139], v[142:143]
	v_fma_f64 v[2:3], s[38:39], v[190:191], v[0:1]
	v_add_f64 v[188:189], v[136:137], -v[140:141]
	v_add_f64 v[140:141], v[2:3], v[218:219]
	v_mul_f64 v[2:3], v[200:201], s[38:39]
	v_fma_f64 v[0:1], v[190:191], s[38:39], -v[0:1]
	v_fma_f64 v[4:5], s[50:51], v[188:189], v[2:3]
	v_add_f64 v[136:137], v[0:1], v[214:215]
	v_fmac_f64_e32 v[2:3], s[36:37], v[188:189]
	v_mul_f64 v[0:1], v[202:203], s[46:47]
	v_add_f64 v[138:139], v[2:3], v[212:213]
	v_fma_f64 v[2:3], s[24:25], v[190:191], v[0:1]
	v_add_f64 v[148:149], v[2:3], v[148:149]
	v_mul_f64 v[2:3], v[200:201], s[24:25]
	v_fma_f64 v[0:1], v[190:191], s[24:25], -v[0:1]
	v_add_f64 v[142:143], v[4:5], v[216:217]
	v_fma_f64 v[4:5], s[22:23], v[188:189], v[2:3]
	v_add_f64 v[144:145], v[0:1], v[144:145]
	v_fmac_f64_e32 v[2:3], s[46:47], v[188:189]
	v_mul_f64 v[0:1], v[202:203], s[30:31]
	v_add_f64 v[146:147], v[2:3], v[146:147]
	v_fma_f64 v[2:3], s[34:35], v[190:191], v[0:1]
	v_add_f64 v[156:157], v[2:3], v[156:157]
	v_mul_f64 v[2:3], v[200:201], s[34:35]
	v_fma_f64 v[0:1], v[190:191], s[34:35], -v[0:1]
	v_add_f64 v[150:151], v[4:5], v[150:151]
	;; [unrolled: 10-line block ×5, first 2 shown]
	v_fma_f64 v[4:5], s[14:15], v[188:189], v[2:3]
	v_add_f64 v[206:207], v[0:1], v[206:207]
	v_fmac_f64_e32 v[2:3], s[42:43], v[188:189]
	v_mul_f64 v[0:1], v[202:203], s[8:9]
	v_add_f64 v[212:213], v[4:5], v[208:209]
	v_add_f64 v[208:209], v[2:3], v[204:205]
	v_fma_f64 v[2:3], s[16:17], v[190:191], v[0:1]
	v_add_f64 v[214:215], v[2:3], v[194:195]
	v_mul_f64 v[2:3], v[200:201], s[16:17]
	v_add_f64 v[192:193], v[10:11], v[220:221]
	v_fma_f64 v[4:5], s[40:41], v[188:189], v[2:3]
	v_fma_f64 v[0:1], v[190:191], s[16:17], -v[0:1]
	v_add_f64 v[216:217], v[4:5], v[192:193]
	v_add_f64 v[192:193], v[0:1], v[186:187]
	v_fmac_f64_e32 v[2:3], s[8:9], v[188:189]
	v_mul_f64 v[0:1], v[202:203], s[54:55]
	v_add_f64 v[194:195], v[2:3], v[184:185]
	v_fma_f64 v[2:3], s[2:3], v[190:191], v[0:1]
	v_add_f64 v[182:183], v[2:3], v[182:183]
	v_mul_f64 v[2:3], v[200:201], s[2:3]
	v_add_f64 v[180:181], v[6:7], v[224:225]
	v_fma_f64 v[4:5], s[6:7], v[188:189], v[2:3]
	v_fma_f64 v[0:1], v[190:191], s[2:3], -v[0:1]
	v_fmac_f64_e32 v[2:3], s[54:55], v[188:189]
	v_add_f64 v[184:185], v[4:5], v[180:181]
	v_add_f64 v[178:179], v[0:1], v[178:179]
	;; [unrolled: 1-line block ×3, first 2 shown]
	s_barrier
	ds_write_b128 v197, v[132:135]
	ds_write_b128 v197, v[140:143] offset:16
	ds_write_b128 v197, v[148:151] offset:32
	ds_write_b128 v197, v[156:159] offset:48
	ds_write_b128 v197, v[164:167] offset:64
	ds_write_b128 v197, v[172:175] offset:80
	ds_write_b128 v197, v[210:213] offset:96
	ds_write_b128 v197, v[214:217] offset:112
	ds_write_b128 v197, v[182:185] offset:128
	ds_write_b128 v197, v[178:181] offset:144
	ds_write_b128 v197, v[192:195] offset:160
	ds_write_b128 v197, v[206:209] offset:176
	ds_write_b128 v197, v[168:171] offset:192
	ds_write_b128 v197, v[160:163] offset:208
	ds_write_b128 v197, v[152:155] offset:224
	ds_write_b128 v197, v[144:147] offset:240
	ds_write_b128 v197, v[136:139] offset:256
	s_waitcnt lgkmcnt(0)
	s_barrier
	ds_read_b128 v[132:135], v239
	ds_read_b128 v[136:139], v239 offset:272
	ds_read_b128 v[140:143], v239 offset:544
	;; [unrolled: 1-line block ×16, first 2 shown]
	s_waitcnt lgkmcnt(14)
	v_mul_f64 v[2:3], v[82:83], v[136:137]
	v_mul_f64 v[0:1], v[82:83], v[138:139]
	v_fma_f64 v[2:3], v[80:81], v[138:139], -v[2:3]
	v_mul_f64 v[4:5], v[78:79], v[140:141]
	v_fmac_f64_e32 v[0:1], v[80:81], v[136:137]
	v_mul_f64 v[146:147], v[78:79], v[142:143]
	v_fma_f64 v[148:149], v[76:77], v[142:143], -v[4:5]
	s_waitcnt lgkmcnt(13)
	v_mul_f64 v[4:5], v[74:75], v[150:151]
	v_add_f64 v[14:15], v[134:135], v[2:3]
	v_fmac_f64_e32 v[146:147], v[76:77], v[140:141]
	v_mul_f64 v[142:143], v[74:75], v[152:153]
	v_fma_f64 v[144:145], v[72:73], v[152:153], -v[4:5]
	s_waitcnt lgkmcnt(12)
	v_mul_f64 v[4:5], v[70:71], v[154:155]
	v_add_f64 v[12:13], v[132:133], v[0:1]
	v_add_f64 v[14:15], v[14:15], v[148:149]
	v_fmac_f64_e32 v[142:143], v[72:73], v[150:151]
	v_mul_f64 v[138:139], v[70:71], v[156:157]
	v_fma_f64 v[140:141], v[68:69], v[156:157], -v[4:5]
	s_waitcnt lgkmcnt(11)
	v_mul_f64 v[136:137], v[98:99], v[160:161]
	v_mul_f64 v[4:5], v[98:99], v[158:159]
	v_add_f64 v[12:13], v[12:13], v[146:147]
	v_add_f64 v[14:15], v[14:15], v[144:145]
	v_fmac_f64_e32 v[138:139], v[68:69], v[154:155]
	v_fmac_f64_e32 v[136:137], v[96:97], v[158:159]
	v_fma_f64 v[98:99], v[96:97], v[160:161], -v[4:5]
	s_waitcnt lgkmcnt(10)
	v_mul_f64 v[96:97], v[94:95], v[164:165]
	v_mul_f64 v[4:5], v[94:95], v[162:163]
	v_add_f64 v[12:13], v[12:13], v[142:143]
	v_add_f64 v[14:15], v[14:15], v[140:141]
	v_fmac_f64_e32 v[96:97], v[92:93], v[162:163]
	v_fma_f64 v[92:93], v[92:93], v[164:165], -v[4:5]
	s_waitcnt lgkmcnt(9)
	v_mul_f64 v[4:5], v[90:91], v[166:167]
	v_add_f64 v[12:13], v[12:13], v[138:139]
	v_add_f64 v[14:15], v[14:15], v[98:99]
	v_mul_f64 v[80:81], v[90:91], v[168:169]
	v_fma_f64 v[82:83], v[88:89], v[168:169], -v[4:5]
	s_waitcnt lgkmcnt(8)
	v_mul_f64 v[4:5], v[86:87], v[170:171]
	v_add_f64 v[12:13], v[12:13], v[136:137]
	v_add_f64 v[14:15], v[14:15], v[92:93]
	v_fmac_f64_e32 v[80:81], v[88:89], v[166:167]
	v_mul_f64 v[72:73], v[86:87], v[172:173]
	v_fma_f64 v[74:75], v[84:85], v[172:173], -v[4:5]
	s_waitcnt lgkmcnt(7)
	v_mul_f64 v[4:5], v[114:115], v[174:175]
	v_add_f64 v[12:13], v[12:13], v[96:97]
	v_add_f64 v[14:15], v[14:15], v[82:83]
	v_fmac_f64_e32 v[72:73], v[84:85], v[170:171]
	;; [unrolled: 7-line block ×4, first 2 shown]
	v_mul_f64 v[88:89], v[106:107], v[184:185]
	v_fma_f64 v[90:91], v[104:105], v[184:185], -v[4:5]
	s_waitcnt lgkmcnt(4)
	v_mul_f64 v[94:95], v[102:103], v[188:189]
	v_mul_f64 v[4:5], v[102:103], v[186:187]
	v_add_f64 v[12:13], v[12:13], v[76:77]
	v_add_f64 v[14:15], v[14:15], v[86:87]
	v_fmac_f64_e32 v[88:89], v[104:105], v[182:183]
	v_fmac_f64_e32 v[94:95], v[100:101], v[186:187]
	v_fma_f64 v[100:101], v[100:101], v[188:189], -v[4:5]
	s_waitcnt lgkmcnt(3)
	v_mul_f64 v[4:5], v[130:131], v[190:191]
	v_add_f64 v[12:13], v[12:13], v[84:85]
	v_add_f64 v[14:15], v[14:15], v[90:91]
	v_mul_f64 v[102:103], v[130:131], v[192:193]
	v_fma_f64 v[104:105], v[128:129], v[192:193], -v[4:5]
	s_waitcnt lgkmcnt(2)
	v_mul_f64 v[4:5], v[126:127], v[200:201]
	v_add_f64 v[12:13], v[12:13], v[88:89]
	v_add_f64 v[14:15], v[14:15], v[100:101]
	v_fmac_f64_e32 v[102:103], v[128:129], v[190:191]
	v_mul_f64 v[106:107], v[126:127], v[202:203]
	v_fma_f64 v[108:109], v[124:125], v[202:203], -v[4:5]
	s_waitcnt lgkmcnt(1)
	v_mul_f64 v[6:7], v[122:123], v[204:205]
	v_add_f64 v[12:13], v[12:13], v[94:95]
	v_add_f64 v[14:15], v[14:15], v[104:105]
	v_fmac_f64_e32 v[106:107], v[124:125], v[200:201]
	;; [unrolled: 7-line block ×3, first 2 shown]
	v_mul_f64 v[8:9], v[118:119], v[210:211]
	v_fma_f64 v[10:11], v[116:117], v[210:211], -v[10:11]
	v_add_f64 v[12:13], v[12:13], v[106:107]
	v_add_f64 v[14:15], v[14:15], v[6:7]
	v_fmac_f64_e32 v[8:9], v[116:117], v[208:209]
	v_add_f64 v[12:13], v[12:13], v[4:5]
	v_add_f64 v[70:71], v[14:15], v[10:11]
	;; [unrolled: 1-line block ×5, first 2 shown]
	v_add_f64 v[0:1], v[0:1], -v[8:9]
	v_add_f64 v[2:3], v[2:3], -v[10:11]
	v_mul_f64 v[110:111], v[14:15], s[24:25]
	v_mul_f64 v[118:119], v[14:15], s[20:21]
	;; [unrolled: 1-line block ×16, first 2 shown]
	v_fma_f64 v[182:183], s[50:51], v[0:1], v[14:15]
	v_fmac_f64_e32 v[14:15], s[36:37], v[0:1]
	v_fma_f64 v[10:11], s[24:25], v[12:13], v[8:9]
	v_fma_f64 v[112:113], s[46:47], v[0:1], v[110:111]
	v_fma_f64 v[8:9], v[12:13], s[24:25], -v[8:9]
	v_fmac_f64_e32 v[110:111], s[22:23], v[0:1]
	v_fma_f64 v[116:117], s[20:21], v[12:13], v[114:115]
	v_fma_f64 v[120:121], s[48:49], v[0:1], v[118:119]
	v_fma_f64 v[114:115], v[12:13], s[20:21], -v[114:115]
	;; [unrolled: 4-line block ×7, first 2 shown]
	v_fmac_f64_e32 v[176:177], s[30:31], v[0:1]
	v_fma_f64 v[180:181], s[38:39], v[12:13], v[2:3]
	v_fma_f64 v[2:3], v[12:13], s[38:39], -v[2:3]
	v_add_f64 v[0:1], v[134:135], v[14:15]
	v_add_f64 v[14:15], v[148:149], v[6:7]
	v_add_f64 v[6:7], v[148:149], -v[6:7]
	v_add_f64 v[10:11], v[132:133], v[10:11]
	v_add_f64 v[8:9], v[132:133], v[8:9]
	;; [unrolled: 1-line block ×17, first 2 shown]
	v_mul_f64 v[132:133], v[6:7], s[18:19]
	v_add_f64 v[112:113], v[134:135], v[112:113]
	v_add_f64 v[110:111], v[134:135], v[110:111]
	;; [unrolled: 1-line block ×15, first 2 shown]
	v_fma_f64 v[134:135], s[20:21], v[12:13], v[132:133]
	v_add_f64 v[4:5], v[146:147], -v[4:5]
	v_add_f64 v[10:11], v[134:135], v[10:11]
	v_mul_f64 v[134:135], v[14:15], s[20:21]
	v_fma_f64 v[132:133], v[12:13], s[20:21], -v[132:133]
	v_fma_f64 v[146:147], s[48:49], v[4:5], v[134:135]
	v_add_f64 v[8:9], v[132:133], v[8:9]
	v_fmac_f64_e32 v[134:135], s[18:19], v[4:5]
	v_mul_f64 v[132:133], v[6:7], s[6:7]
	v_add_f64 v[110:111], v[134:135], v[110:111]
	v_fma_f64 v[134:135], s[2:3], v[12:13], v[132:133]
	v_add_f64 v[116:117], v[134:135], v[116:117]
	v_mul_f64 v[134:135], v[14:15], s[2:3]
	v_fma_f64 v[132:133], v[12:13], s[2:3], -v[132:133]
	v_add_f64 v[112:113], v[146:147], v[112:113]
	v_fma_f64 v[146:147], s[54:55], v[4:5], v[134:135]
	v_add_f64 v[114:115], v[132:133], v[114:115]
	v_fmac_f64_e32 v[134:135], s[6:7], v[4:5]
	v_mul_f64 v[132:133], v[6:7], s[26:27]
	v_add_f64 v[118:119], v[134:135], v[118:119]
	v_fma_f64 v[134:135], s[28:29], v[12:13], v[132:133]
	v_add_f64 v[124:125], v[134:135], v[124:125]
	v_mul_f64 v[134:135], v[14:15], s[28:29]
	v_add_f64 v[120:121], v[146:147], v[120:121]
	v_fma_f64 v[146:147], s[52:53], v[4:5], v[134:135]
	v_fma_f64 v[132:133], v[12:13], s[28:29], -v[132:133]
	v_add_f64 v[128:129], v[146:147], v[128:129]
	v_add_f64 v[122:123], v[132:133], v[122:123]
	v_fmac_f64_e32 v[134:135], s[26:27], v[4:5]
	v_mul_f64 v[132:133], v[6:7], s[36:37]
	v_mul_f64 v[146:147], v[14:15], s[38:39]
	v_add_f64 v[126:127], v[134:135], v[126:127]
	v_fma_f64 v[134:135], s[38:39], v[12:13], v[132:133]
	v_fma_f64 v[148:149], s[50:51], v[4:5], v[146:147]
	v_fma_f64 v[132:133], v[12:13], s[38:39], -v[132:133]
	v_fmac_f64_e32 v[146:147], s[36:37], v[4:5]
	v_add_f64 v[130:131], v[132:133], v[130:131]
	v_add_f64 v[132:133], v[146:147], v[152:153]
	v_mul_f64 v[146:147], v[6:7], s[44:45]
	v_add_f64 v[134:135], v[134:135], v[150:151]
	v_fma_f64 v[150:151], s[34:35], v[12:13], v[146:147]
	v_mul_f64 v[152:153], v[14:15], s[34:35]
	v_fma_f64 v[146:147], v[12:13], s[34:35], -v[146:147]
	v_add_f64 v[148:149], v[148:149], v[154:155]
	v_fma_f64 v[154:155], s[30:31], v[4:5], v[152:153]
	v_add_f64 v[146:147], v[146:147], v[156:157]
	v_fmac_f64_e32 v[152:153], s[44:45], v[4:5]
	v_mul_f64 v[156:157], v[6:7], s[40:41]
	v_add_f64 v[150:151], v[150:151], v[158:159]
	v_add_f64 v[152:153], v[152:153], v[160:161]
	v_fma_f64 v[158:159], s[16:17], v[12:13], v[156:157]
	v_mul_f64 v[160:161], v[14:15], s[16:17]
	v_fma_f64 v[156:157], v[12:13], s[16:17], -v[156:157]
	v_add_f64 v[154:155], v[154:155], v[162:163]
	v_fma_f64 v[162:163], s[8:9], v[4:5], v[160:161]
	v_add_f64 v[156:157], v[156:157], v[164:165]
	v_fmac_f64_e32 v[160:161], s[40:41], v[4:5]
	v_mul_f64 v[164:165], v[6:7], s[42:43]
	v_add_f64 v[158:159], v[158:159], v[166:167]
	v_add_f64 v[160:161], v[160:161], v[168:169]
	v_fma_f64 v[166:167], s[12:13], v[12:13], v[164:165]
	v_mul_f64 v[168:169], v[14:15], s[12:13]
	v_mul_f64 v[14:15], v[14:15], s[24:25]
	v_add_f64 v[166:167], v[166:167], v[174:175]
	v_fma_f64 v[174:175], s[22:23], v[4:5], v[14:15]
	v_fmac_f64_e32 v[14:15], s[46:47], v[4:5]
	v_fma_f64 v[164:165], v[12:13], s[12:13], -v[164:165]
	v_mul_f64 v[6:7], v[6:7], s[46:47]
	v_add_f64 v[0:1], v[14:15], v[0:1]
	v_add_f64 v[14:15], v[144:145], -v[108:109]
	v_add_f64 v[162:163], v[162:163], v[170:171]
	v_fma_f64 v[170:171], s[14:15], v[4:5], v[168:169]
	v_add_f64 v[164:165], v[164:165], v[172:173]
	v_fmac_f64_e32 v[168:169], s[42:43], v[4:5]
	v_fma_f64 v[172:173], s[24:25], v[12:13], v[6:7]
	v_fma_f64 v[6:7], v[12:13], s[24:25], -v[6:7]
	v_add_f64 v[4:5], v[142:143], v[106:107]
	v_add_f64 v[12:13], v[142:143], -v[106:107]
	v_mul_f64 v[106:107], v[14:15], s[14:15]
	v_add_f64 v[2:3], v[6:7], v[2:3]
	v_add_f64 v[6:7], v[144:145], v[108:109]
	v_fma_f64 v[108:109], s[12:13], v[4:5], v[106:107]
	v_add_f64 v[10:11], v[108:109], v[10:11]
	v_mul_f64 v[108:109], v[6:7], s[12:13]
	v_fma_f64 v[142:143], s[42:43], v[12:13], v[108:109]
	v_fma_f64 v[106:107], v[4:5], s[12:13], -v[106:107]
	v_fmac_f64_e32 v[108:109], s[14:15], v[12:13]
	v_add_f64 v[8:9], v[106:107], v[8:9]
	v_add_f64 v[106:107], v[108:109], v[110:111]
	v_mul_f64 v[108:109], v[14:15], s[26:27]
	v_fma_f64 v[110:111], s[28:29], v[4:5], v[108:109]
	v_add_f64 v[110:111], v[110:111], v[116:117]
	v_mul_f64 v[116:117], v[6:7], s[28:29]
	v_add_f64 v[112:113], v[142:143], v[112:113]
	v_fma_f64 v[142:143], s[52:53], v[12:13], v[116:117]
	v_fma_f64 v[108:109], v[4:5], s[28:29], -v[108:109]
	v_fmac_f64_e32 v[116:117], s[26:27], v[12:13]
	v_add_f64 v[108:109], v[108:109], v[114:115]
	v_add_f64 v[114:115], v[116:117], v[118:119]
	v_mul_f64 v[116:117], v[14:15], s[50:51]
	v_fma_f64 v[118:119], s[38:39], v[4:5], v[116:117]
	v_add_f64 v[118:119], v[118:119], v[124:125]
	v_mul_f64 v[124:125], v[6:7], s[38:39]
	v_add_f64 v[120:121], v[142:143], v[120:121]
	;; [unrolled: 10-line block ×3, first 2 shown]
	v_fma_f64 v[142:143], s[8:9], v[12:13], v[134:135]
	v_fma_f64 v[124:125], v[4:5], s[16:17], -v[124:125]
	v_fmac_f64_e32 v[134:135], s[40:41], v[12:13]
	v_add_f64 v[124:125], v[124:125], v[130:131]
	v_add_f64 v[130:131], v[134:135], v[132:133]
	v_mul_f64 v[132:133], v[14:15], s[48:49]
	v_fma_f64 v[134:135], s[20:21], v[4:5], v[132:133]
	v_fma_f64 v[132:133], v[4:5], s[20:21], -v[132:133]
	v_mul_f64 v[144:145], v[6:7], s[20:21]
	v_add_f64 v[132:133], v[132:133], v[146:147]
	v_mul_f64 v[146:147], v[14:15], s[22:23]
	v_add_f64 v[142:143], v[142:143], v[148:149]
	v_add_f64 v[134:135], v[134:135], v[150:151]
	v_fma_f64 v[148:149], s[18:19], v[12:13], v[144:145]
	v_fmac_f64_e32 v[144:145], s[48:49], v[12:13]
	v_fma_f64 v[150:151], s[24:25], v[4:5], v[146:147]
	v_fma_f64 v[146:147], v[4:5], s[24:25], -v[146:147]
	v_add_f64 v[144:145], v[144:145], v[152:153]
	v_mul_f64 v[152:153], v[6:7], s[24:25]
	v_add_f64 v[146:147], v[146:147], v[156:157]
	v_mul_f64 v[156:157], v[14:15], s[6:7]
	v_add_f64 v[148:149], v[148:149], v[154:155]
	v_add_f64 v[150:151], v[150:151], v[158:159]
	v_fma_f64 v[154:155], s[46:47], v[12:13], v[152:153]
	v_fmac_f64_e32 v[152:153], s[22:23], v[12:13]
	v_fma_f64 v[158:159], s[2:3], v[4:5], v[156:157]
	v_fma_f64 v[156:157], v[4:5], s[2:3], -v[156:157]
	v_mul_f64 v[14:15], v[14:15], s[30:31]
	v_add_f64 v[152:153], v[152:153], v[160:161]
	v_mul_f64 v[160:161], v[6:7], s[2:3]
	v_add_f64 v[156:157], v[156:157], v[164:165]
	v_fma_f64 v[164:165], s[34:35], v[4:5], v[14:15]
	v_mul_f64 v[6:7], v[6:7], s[34:35]
	v_fma_f64 v[4:5], v[4:5], s[34:35], -v[14:15]
	v_add_f64 v[14:15], v[140:141], -v[104:105]
	v_add_f64 v[154:155], v[154:155], v[162:163]
	v_add_f64 v[158:159], v[158:159], v[166:167]
	v_fma_f64 v[162:163], s[54:55], v[12:13], v[160:161]
	v_fmac_f64_e32 v[160:161], s[6:7], v[12:13]
	v_fma_f64 v[166:167], s[44:45], v[12:13], v[6:7]
	v_add_f64 v[2:3], v[4:5], v[2:3]
	v_fmac_f64_e32 v[6:7], s[30:31], v[12:13]
	v_add_f64 v[4:5], v[138:139], v[102:103]
	v_add_f64 v[12:13], v[138:139], -v[102:103]
	v_mul_f64 v[102:103], v[14:15], s[6:7]
	v_add_f64 v[0:1], v[6:7], v[0:1]
	v_add_f64 v[6:7], v[140:141], v[104:105]
	v_fma_f64 v[104:105], s[2:3], v[4:5], v[102:103]
	v_add_f64 v[10:11], v[104:105], v[10:11]
	v_mul_f64 v[104:105], v[6:7], s[2:3]
	v_fma_f64 v[138:139], s[54:55], v[12:13], v[104:105]
	v_fma_f64 v[102:103], v[4:5], s[2:3], -v[102:103]
	v_fmac_f64_e32 v[104:105], s[6:7], v[12:13]
	v_add_f64 v[8:9], v[102:103], v[8:9]
	v_add_f64 v[102:103], v[104:105], v[106:107]
	v_mul_f64 v[104:105], v[14:15], s[36:37]
	v_fma_f64 v[106:107], s[38:39], v[4:5], v[104:105]
	v_add_f64 v[106:107], v[106:107], v[110:111]
	v_mul_f64 v[110:111], v[6:7], s[38:39]
	v_add_f64 v[112:113], v[138:139], v[112:113]
	v_fma_f64 v[138:139], s[50:51], v[12:13], v[110:111]
	v_fma_f64 v[104:105], v[4:5], s[38:39], -v[104:105]
	v_fmac_f64_e32 v[110:111], s[36:37], v[12:13]
	v_add_f64 v[104:105], v[104:105], v[108:109]
	v_add_f64 v[108:109], v[110:111], v[114:115]
	v_mul_f64 v[110:111], v[14:15], s[40:41]
	v_fma_f64 v[114:115], s[16:17], v[4:5], v[110:111]
	v_add_f64 v[114:115], v[114:115], v[118:119]
	v_mul_f64 v[118:119], v[6:7], s[16:17]
	v_add_f64 v[120:121], v[138:139], v[120:121]
	;; [unrolled: 10-line block ×3, first 2 shown]
	v_fma_f64 v[138:139], s[22:23], v[12:13], v[126:127]
	v_fma_f64 v[118:119], v[4:5], s[24:25], -v[118:119]
	v_fmac_f64_e32 v[126:127], s[46:47], v[12:13]
	v_add_f64 v[118:119], v[118:119], v[124:125]
	v_add_f64 v[124:125], v[126:127], v[130:131]
	v_mul_f64 v[126:127], v[14:15], s[14:15]
	v_fma_f64 v[130:131], s[12:13], v[4:5], v[126:127]
	v_add_f64 v[130:131], v[130:131], v[134:135]
	v_mul_f64 v[134:135], v[6:7], s[12:13]
	v_fma_f64 v[140:141], s[42:43], v[12:13], v[134:135]
	v_fma_f64 v[126:127], v[4:5], s[12:13], -v[126:127]
	v_fmac_f64_e32 v[134:135], s[14:15], v[12:13]
	v_add_f64 v[126:127], v[126:127], v[132:133]
	v_add_f64 v[132:133], v[134:135], v[144:145]
	v_mul_f64 v[134:135], v[14:15], s[30:31]
	v_add_f64 v[138:139], v[138:139], v[142:143]
	v_fma_f64 v[142:143], s[34:35], v[4:5], v[134:135]
	v_fma_f64 v[134:135], v[4:5], s[34:35], -v[134:135]
	v_mul_f64 v[144:145], v[6:7], s[34:35]
	v_add_f64 v[134:135], v[134:135], v[146:147]
	v_mul_f64 v[146:147], v[14:15], s[52:53]
	v_add_f64 v[140:141], v[140:141], v[148:149]
	v_add_f64 v[142:143], v[142:143], v[150:151]
	v_fma_f64 v[148:149], s[44:45], v[12:13], v[144:145]
	v_fmac_f64_e32 v[144:145], s[30:31], v[12:13]
	v_fma_f64 v[150:151], s[28:29], v[4:5], v[146:147]
	v_fma_f64 v[146:147], v[4:5], s[28:29], -v[146:147]
	v_mul_f64 v[14:15], v[14:15], s[48:49]
	v_add_f64 v[144:145], v[144:145], v[152:153]
	v_mul_f64 v[152:153], v[6:7], s[28:29]
	v_add_f64 v[146:147], v[146:147], v[156:157]
	v_fma_f64 v[156:157], s[20:21], v[4:5], v[14:15]
	v_mul_f64 v[6:7], v[6:7], s[20:21]
	v_fma_f64 v[4:5], v[4:5], s[20:21], -v[14:15]
	v_add_f64 v[14:15], v[98:99], -v[100:101]
	v_add_f64 v[148:149], v[148:149], v[154:155]
	v_add_f64 v[150:151], v[150:151], v[158:159]
	v_fma_f64 v[154:155], s[26:27], v[12:13], v[152:153]
	v_fmac_f64_e32 v[152:153], s[52:53], v[12:13]
	v_fma_f64 v[158:159], s[18:19], v[12:13], v[6:7]
	v_add_f64 v[2:3], v[4:5], v[2:3]
	v_fmac_f64_e32 v[6:7], s[48:49], v[12:13]
	v_add_f64 v[4:5], v[136:137], v[94:95]
	v_add_f64 v[12:13], v[136:137], -v[94:95]
	v_mul_f64 v[94:95], v[14:15], s[8:9]
	v_add_f64 v[0:1], v[6:7], v[0:1]
	v_add_f64 v[6:7], v[98:99], v[100:101]
	v_fma_f64 v[98:99], s[16:17], v[4:5], v[94:95]
	v_add_f64 v[10:11], v[98:99], v[10:11]
	v_mul_f64 v[98:99], v[6:7], s[16:17]
	v_fma_f64 v[100:101], s[40:41], v[12:13], v[98:99]
	v_fma_f64 v[94:95], v[4:5], s[16:17], -v[94:95]
	v_fmac_f64_e32 v[98:99], s[8:9], v[12:13]
	v_add_f64 v[8:9], v[94:95], v[8:9]
	v_add_f64 v[94:95], v[98:99], v[102:103]
	v_mul_f64 v[98:99], v[14:15], s[44:45]
	v_fma_f64 v[102:103], s[34:35], v[4:5], v[98:99]
	v_add_f64 v[102:103], v[102:103], v[106:107]
	v_mul_f64 v[106:107], v[6:7], s[34:35]
	v_add_f64 v[100:101], v[100:101], v[112:113]
	v_fma_f64 v[112:113], s[30:31], v[12:13], v[106:107]
	v_fma_f64 v[98:99], v[4:5], s[34:35], -v[98:99]
	v_fmac_f64_e32 v[106:107], s[44:45], v[12:13]
	v_add_f64 v[98:99], v[98:99], v[104:105]
	v_add_f64 v[104:105], v[106:107], v[108:109]
	v_mul_f64 v[106:107], v[14:15], s[48:49]
	v_fma_f64 v[108:109], s[20:21], v[4:5], v[106:107]
	v_add_f64 v[108:109], v[108:109], v[114:115]
	v_mul_f64 v[114:115], v[6:7], s[20:21]
	v_add_f64 v[112:113], v[112:113], v[120:121]
	;; [unrolled: 10-line block ×3, first 2 shown]
	v_fma_f64 v[128:129], s[42:43], v[12:13], v[122:123]
	v_fma_f64 v[114:115], v[4:5], s[12:13], -v[114:115]
	v_fmac_f64_e32 v[122:123], s[14:15], v[12:13]
	v_add_f64 v[114:115], v[114:115], v[118:119]
	v_add_f64 v[118:119], v[122:123], v[124:125]
	v_mul_f64 v[122:123], v[14:15], s[36:37]
	v_fma_f64 v[124:125], s[38:39], v[4:5], v[122:123]
	v_add_f64 v[124:125], v[124:125], v[130:131]
	v_mul_f64 v[130:131], v[6:7], s[38:39]
	v_fma_f64 v[136:137], s[50:51], v[12:13], v[130:131]
	v_fma_f64 v[122:123], v[4:5], s[38:39], -v[122:123]
	v_fmac_f64_e32 v[130:131], s[36:37], v[12:13]
	v_add_f64 v[128:129], v[128:129], v[138:139]
	v_add_f64 v[122:123], v[122:123], v[126:127]
	;; [unrolled: 1-line block ×3, first 2 shown]
	v_mul_f64 v[130:131], v[14:15], s[54:55]
	v_mul_f64 v[138:139], v[6:7], s[2:3]
	v_add_f64 v[136:137], v[136:137], v[140:141]
	v_fma_f64 v[132:133], s[2:3], v[4:5], v[130:131]
	v_fma_f64 v[140:141], s[6:7], v[12:13], v[138:139]
	v_fma_f64 v[130:131], v[4:5], s[2:3], -v[130:131]
	v_fmac_f64_e32 v[138:139], s[54:55], v[12:13]
	v_add_f64 v[130:131], v[130:131], v[134:135]
	v_add_f64 v[134:135], v[138:139], v[144:145]
	v_mul_f64 v[138:139], v[14:15], s[22:23]
	v_add_f64 v[132:133], v[132:133], v[142:143]
	v_fma_f64 v[142:143], s[24:25], v[4:5], v[138:139]
	v_fma_f64 v[138:139], v[4:5], s[24:25], -v[138:139]
	v_mul_f64 v[14:15], v[14:15], s[26:27]
	v_mul_f64 v[144:145], v[6:7], s[24:25]
	v_add_f64 v[138:139], v[138:139], v[146:147]
	v_fma_f64 v[146:147], s[28:29], v[4:5], v[14:15]
	v_mul_f64 v[6:7], v[6:7], s[28:29]
	v_fma_f64 v[4:5], v[4:5], s[28:29], -v[14:15]
	v_add_f64 v[14:15], v[92:93], -v[90:91]
	v_add_f64 v[140:141], v[140:141], v[148:149]
	v_add_f64 v[142:143], v[142:143], v[150:151]
	v_fma_f64 v[148:149], s[46:47], v[12:13], v[144:145]
	v_fmac_f64_e32 v[144:145], s[22:23], v[12:13]
	v_fma_f64 v[150:151], s[52:53], v[12:13], v[6:7]
	v_add_f64 v[2:3], v[4:5], v[2:3]
	v_fmac_f64_e32 v[6:7], s[26:27], v[12:13]
	v_add_f64 v[4:5], v[96:97], v[88:89]
	v_add_f64 v[12:13], v[96:97], -v[88:89]
	v_mul_f64 v[88:89], v[14:15], s[26:27]
	v_add_f64 v[0:1], v[6:7], v[0:1]
	v_add_f64 v[6:7], v[92:93], v[90:91]
	v_fma_f64 v[90:91], s[28:29], v[4:5], v[88:89]
	v_add_f64 v[10:11], v[90:91], v[10:11]
	v_mul_f64 v[90:91], v[6:7], s[28:29]
	v_fma_f64 v[92:93], s[52:53], v[12:13], v[90:91]
	v_fma_f64 v[88:89], v[4:5], s[28:29], -v[88:89]
	v_fmac_f64_e32 v[90:91], s[26:27], v[12:13]
	v_add_f64 v[8:9], v[88:89], v[8:9]
	v_add_f64 v[88:89], v[90:91], v[94:95]
	v_mul_f64 v[90:91], v[14:15], s[40:41]
	v_fma_f64 v[94:95], s[16:17], v[4:5], v[90:91]
	v_mul_f64 v[96:97], v[6:7], s[16:17]
	v_fma_f64 v[90:91], v[4:5], s[16:17], -v[90:91]
	v_add_f64 v[92:93], v[92:93], v[100:101]
	v_fma_f64 v[100:101], s[8:9], v[12:13], v[96:97]
	v_add_f64 v[90:91], v[90:91], v[98:99]
	v_fmac_f64_e32 v[96:97], s[40:41], v[12:13]
	v_mul_f64 v[98:99], v[14:15], s[22:23]
	v_add_f64 v[94:95], v[94:95], v[102:103]
	v_add_f64 v[96:97], v[96:97], v[104:105]
	v_fma_f64 v[102:103], s[24:25], v[4:5], v[98:99]
	v_mul_f64 v[104:105], v[6:7], s[24:25]
	v_fma_f64 v[98:99], v[4:5], s[24:25], -v[98:99]
	v_add_f64 v[102:103], v[102:103], v[108:109]
	v_fma_f64 v[108:109], s[46:47], v[12:13], v[104:105]
	v_add_f64 v[98:99], v[98:99], v[106:107]
	v_fmac_f64_e32 v[104:105], s[22:23], v[12:13]
	v_mul_f64 v[106:107], v[14:15], s[30:31]
	v_add_f64 v[100:101], v[100:101], v[112:113]
	v_add_f64 v[104:105], v[104:105], v[110:111]
	;; [unrolled: 10-line block ×4, first 2 shown]
	v_fma_f64 v[126:127], s[20:21], v[4:5], v[122:123]
	v_mul_f64 v[128:129], v[6:7], s[20:21]
	v_fma_f64 v[122:123], v[4:5], s[20:21], -v[122:123]
	v_add_f64 v[126:127], v[126:127], v[132:133]
	v_fma_f64 v[132:133], s[48:49], v[12:13], v[128:129]
	v_add_f64 v[122:123], v[122:123], v[130:131]
	v_fmac_f64_e32 v[128:129], s[18:19], v[12:13]
	v_mul_f64 v[130:131], v[14:15], s[36:37]
	v_add_f64 v[128:129], v[128:129], v[134:135]
	v_fma_f64 v[134:135], s[38:39], v[4:5], v[130:131]
	v_fma_f64 v[130:131], v[4:5], s[38:39], -v[130:131]
	v_mul_f64 v[14:15], v[14:15], s[42:43]
	v_add_f64 v[124:125], v[124:125], v[136:137]
	v_mul_f64 v[136:137], v[6:7], s[38:39]
	v_add_f64 v[130:131], v[130:131], v[138:139]
	v_fma_f64 v[138:139], s[12:13], v[4:5], v[14:15]
	v_mul_f64 v[6:7], v[6:7], s[12:13]
	v_fma_f64 v[4:5], v[4:5], s[12:13], -v[14:15]
	v_add_f64 v[14:15], v[82:83], -v[86:87]
	v_add_f64 v[132:133], v[132:133], v[140:141]
	v_add_f64 v[134:135], v[134:135], v[142:143]
	v_fma_f64 v[140:141], s[50:51], v[12:13], v[136:137]
	v_fmac_f64_e32 v[136:137], s[36:37], v[12:13]
	v_fma_f64 v[142:143], s[14:15], v[12:13], v[6:7]
	v_add_f64 v[2:3], v[4:5], v[2:3]
	v_fmac_f64_e32 v[6:7], s[42:43], v[12:13]
	v_add_f64 v[4:5], v[80:81], v[84:85]
	v_add_f64 v[12:13], v[80:81], -v[84:85]
	v_mul_f64 v[80:81], v[14:15], s[30:31]
	v_add_f64 v[0:1], v[6:7], v[0:1]
	v_add_f64 v[6:7], v[82:83], v[86:87]
	v_fma_f64 v[82:83], s[34:35], v[4:5], v[80:81]
	v_add_f64 v[10:11], v[82:83], v[10:11]
	v_mul_f64 v[82:83], v[6:7], s[34:35]
	v_fma_f64 v[84:85], s[44:45], v[12:13], v[82:83]
	v_fma_f64 v[80:81], v[4:5], s[34:35], -v[80:81]
	v_fmac_f64_e32 v[82:83], s[30:31], v[12:13]
	v_add_f64 v[8:9], v[80:81], v[8:9]
	v_add_f64 v[80:81], v[82:83], v[88:89]
	v_mul_f64 v[82:83], v[14:15], s[42:43]
	v_fma_f64 v[86:87], s[12:13], v[4:5], v[82:83]
	v_fma_f64 v[82:83], v[4:5], s[12:13], -v[82:83]
	v_mul_f64 v[88:89], v[6:7], s[12:13]
	v_add_f64 v[90:91], v[82:83], v[90:91]
	v_mul_f64 v[82:83], v[14:15], s[6:7]
	v_add_f64 v[84:85], v[84:85], v[92:93]
	v_add_f64 v[86:87], v[86:87], v[94:95]
	v_fma_f64 v[92:93], s[14:15], v[12:13], v[88:89]
	v_fmac_f64_e32 v[88:89], s[42:43], v[12:13]
	v_fma_f64 v[94:95], s[2:3], v[4:5], v[82:83]
	v_fma_f64 v[82:83], v[4:5], s[2:3], -v[82:83]
	v_add_f64 v[88:89], v[88:89], v[96:97]
	v_mul_f64 v[96:97], v[6:7], s[2:3]
	v_add_f64 v[98:99], v[82:83], v[98:99]
	v_mul_f64 v[82:83], v[14:15], s[52:53]
	v_add_f64 v[92:93], v[92:93], v[100:101]
	v_add_f64 v[94:95], v[94:95], v[102:103]
	v_fma_f64 v[100:101], s[54:55], v[12:13], v[96:97]
	v_fmac_f64_e32 v[96:97], s[6:7], v[12:13]
	v_fma_f64 v[102:103], s[28:29], v[4:5], v[82:83]
	v_fma_f64 v[82:83], v[4:5], s[28:29], -v[82:83]
	v_add_f64 v[96:97], v[96:97], v[104:105]
	;; [unrolled: 10-line block ×3, first 2 shown]
	v_add_f64 v[104:105], v[104:105], v[112:113]
	v_mul_f64 v[112:113], v[6:7], s[24:25]
	v_add_f64 v[114:115], v[82:83], v[114:115]
	v_mul_f64 v[82:83], v[14:15], s[36:37]
	v_add_f64 v[164:165], v[164:165], v[172:173]
	v_add_f64 v[108:109], v[108:109], v[116:117]
	;; [unrolled: 1-line block ×3, first 2 shown]
	v_fma_f64 v[116:117], s[46:47], v[12:13], v[112:113]
	v_fmac_f64_e32 v[112:113], s[22:23], v[12:13]
	v_fma_f64 v[118:119], s[38:39], v[4:5], v[82:83]
	v_fma_f64 v[82:83], v[4:5], s[38:39], -v[82:83]
	v_add_f64 v[156:157], v[156:157], v[164:165]
	v_add_f64 v[112:113], v[112:113], v[120:121]
	v_mul_f64 v[120:121], v[6:7], s[38:39]
	v_add_f64 v[122:123], v[82:83], v[122:123]
	v_mul_f64 v[82:83], v[14:15], s[48:49]
	v_add_f64 v[146:147], v[146:147], v[156:157]
	v_add_f64 v[116:117], v[116:117], v[124:125]
	v_add_f64 v[118:119], v[118:119], v[126:127]
	v_fma_f64 v[124:125], s[50:51], v[12:13], v[120:121]
	v_fmac_f64_e32 v[120:121], s[36:37], v[12:13]
	v_fma_f64 v[126:127], s[20:21], v[4:5], v[82:83]
	v_fma_f64 v[82:83], v[4:5], s[20:21], -v[82:83]
	v_mul_f64 v[14:15], v[14:15], s[8:9]
	v_add_f64 v[138:139], v[138:139], v[146:147]
	v_add_f64 v[120:121], v[120:121], v[128:129]
	v_mul_f64 v[128:129], v[6:7], s[20:21]
	v_add_f64 v[130:131], v[82:83], v[130:131]
	v_fma_f64 v[82:83], s[16:17], v[4:5], v[14:15]
	v_mul_f64 v[6:7], v[6:7], s[16:17]
	v_fma_f64 v[4:5], v[4:5], s[16:17], -v[14:15]
	v_add_f64 v[14:15], v[74:75], -v[78:79]
	v_add_f64 v[124:125], v[124:125], v[132:133]
	v_add_f64 v[126:127], v[126:127], v[134:135]
	v_fma_f64 v[132:133], s[18:19], v[12:13], v[128:129]
	v_fmac_f64_e32 v[128:129], s[48:49], v[12:13]
	v_add_f64 v[134:135], v[82:83], v[138:139]
	v_fma_f64 v[82:83], s[40:41], v[12:13], v[6:7]
	v_add_f64 v[2:3], v[4:5], v[2:3]
	v_fmac_f64_e32 v[6:7], s[8:9], v[12:13]
	v_add_f64 v[4:5], v[72:73], v[76:77]
	v_add_f64 v[12:13], v[72:73], -v[76:77]
	v_mul_f64 v[76:77], v[14:15], s[36:37]
	v_add_f64 v[168:169], v[168:169], v[176:177]
	v_add_f64 v[174:175], v[174:175], v[182:183]
	;; [unrolled: 1-line block ×4, first 2 shown]
	v_fma_f64 v[72:73], s[38:39], v[4:5], v[76:77]
	v_add_f64 v[160:161], v[160:161], v[168:169]
	v_add_f64 v[166:167], v[166:167], v[174:175]
	;; [unrolled: 1-line block ×3, first 2 shown]
	v_mul_f64 v[10:11], v[6:7], s[38:39]
	v_fma_f64 v[76:77], v[4:5], s[38:39], -v[76:77]
	v_add_f64 v[152:153], v[152:153], v[160:161]
	v_add_f64 v[158:159], v[158:159], v[166:167]
	v_fma_f64 v[74:75], s[50:51], v[12:13], v[10:11]
	v_add_f64 v[76:77], v[76:77], v[8:9]
	v_fmac_f64_e32 v[10:11], s[36:37], v[12:13]
	v_mul_f64 v[8:9], v[14:15], s[46:47]
	v_add_f64 v[144:145], v[144:145], v[152:153]
	v_add_f64 v[150:151], v[150:151], v[158:159]
	;; [unrolled: 1-line block ×3, first 2 shown]
	v_fma_f64 v[10:11], s[24:25], v[4:5], v[8:9]
	v_add_f64 v[136:137], v[136:137], v[144:145]
	v_add_f64 v[142:143], v[142:143], v[150:151]
	;; [unrolled: 1-line block ×3, first 2 shown]
	v_mul_f64 v[10:11], v[6:7], s[24:25]
	v_fma_f64 v[8:9], v[4:5], s[24:25], -v[8:9]
	v_add_f64 v[128:129], v[128:129], v[136:137]
	v_add_f64 v[136:137], v[82:83], v[142:143]
	;; [unrolled: 1-line block ×3, first 2 shown]
	v_fma_f64 v[82:83], s[22:23], v[12:13], v[10:11]
	v_add_f64 v[84:85], v[8:9], v[90:91]
	v_fmac_f64_e32 v[10:11], s[46:47], v[12:13]
	v_mul_f64 v[8:9], v[14:15], s[30:31]
	v_add_f64 v[86:87], v[10:11], v[88:89]
	v_fma_f64 v[10:11], s[34:35], v[4:5], v[8:9]
	v_add_f64 v[88:89], v[10:11], v[94:95]
	v_mul_f64 v[10:11], v[6:7], s[34:35]
	v_fma_f64 v[8:9], v[4:5], s[34:35], -v[8:9]
	v_add_f64 v[82:83], v[82:83], v[92:93]
	v_fma_f64 v[90:91], s[44:45], v[12:13], v[10:11]
	v_add_f64 v[92:93], v[8:9], v[98:99]
	v_fmac_f64_e32 v[10:11], s[30:31], v[12:13]
	v_mul_f64 v[8:9], v[14:15], s[48:49]
	v_add_f64 v[94:95], v[10:11], v[96:97]
	v_fma_f64 v[10:11], s[20:21], v[4:5], v[8:9]
	v_add_f64 v[96:97], v[10:11], v[102:103]
	v_mul_f64 v[10:11], v[6:7], s[20:21]
	v_fma_f64 v[8:9], v[4:5], s[20:21], -v[8:9]
	v_add_f64 v[90:91], v[90:91], v[100:101]
	;; [unrolled: 10-line block ×4, first 2 shown]
	v_add_f64 v[106:107], v[106:107], v[116:117]
	v_fma_f64 v[114:115], s[14:15], v[12:13], v[10:11]
	v_add_f64 v[116:117], v[8:9], v[122:123]
	v_fmac_f64_e32 v[10:11], s[42:43], v[12:13]
	v_mul_f64 v[8:9], v[14:15], s[8:9]
	v_add_f64 v[162:163], v[162:163], v[170:171]
	v_add_f64 v[118:119], v[10:11], v[120:121]
	v_fma_f64 v[10:11], s[16:17], v[4:5], v[8:9]
	v_add_f64 v[154:155], v[154:155], v[162:163]
	v_add_f64 v[120:121], v[10:11], v[126:127]
	v_mul_f64 v[10:11], v[6:7], s[16:17]
	v_fma_f64 v[8:9], v[4:5], s[16:17], -v[8:9]
	v_add_f64 v[148:149], v[148:149], v[154:155]
	v_add_f64 v[114:115], v[114:115], v[124:125]
	v_fma_f64 v[122:123], s[40:41], v[12:13], v[10:11]
	v_add_f64 v[124:125], v[8:9], v[130:131]
	v_fmac_f64_e32 v[10:11], s[8:9], v[12:13]
	v_mul_f64 v[8:9], v[14:15], s[54:55]
	v_add_f64 v[140:141], v[140:141], v[148:149]
	v_add_f64 v[126:127], v[10:11], v[128:129]
	v_fma_f64 v[10:11], s[2:3], v[4:5], v[8:9]
	v_mul_f64 v[6:7], v[6:7], s[2:3]
	v_add_f64 v[132:133], v[132:133], v[140:141]
	v_add_f64 v[128:129], v[10:11], v[134:135]
	v_fma_f64 v[10:11], s[6:7], v[12:13], v[6:7]
	v_fma_f64 v[4:5], v[4:5], s[2:3], -v[8:9]
	v_fmac_f64_e32 v[6:7], s[54:55], v[12:13]
	v_add_f64 v[122:123], v[122:123], v[132:133]
	v_add_f64 v[130:131], v[10:11], v[136:137]
	;; [unrolled: 1-line block ×4, first 2 shown]
	ds_write_b128 v239, v[68:71]
	ds_write_b128 v239, v[72:75] offset:272
	ds_write_b128 v239, v[80:83] offset:544
	;; [unrolled: 1-line block ×16, first 2 shown]
	s_waitcnt lgkmcnt(0)
	s_barrier
	ds_read_b128 v[68:71], v239
	ds_read_b128 v[72:75], v239 offset:272
	v_mov_b32_e32 v0, s0
	v_mov_b32_e32 v1, s1
	s_mov_b32 s0, 0xd10d4986
	s_waitcnt lgkmcnt(1)
	v_mul_f64 v[2:3], v[30:31], v[70:71]
	v_fmac_f64_e32 v[2:3], v[28:29], v[68:69]
	s_mov_b32 s1, 0x3f6c5894
	v_mul_f64 v[76:77], v[2:3], s[0:1]
	v_mul_f64 v[2:3], v[30:31], v[68:69]
	v_fma_f64 v[2:3], v[28:29], v[70:71], -v[2:3]
	v_mul_f64 v[78:79], v[2:3], s[0:1]
	v_mad_u64_u32 v[2:3], s[2:3], s4, v238, 0
	v_mov_b32_e32 v4, v3
	v_mov_b32_e32 v197, v198
	v_mad_u64_u32 v[4:5], s[2:3], s5, v238, v[4:5]
	v_mov_b32_e32 v3, v4
	v_lshl_add_u64 v[0:1], v[196:197], 4, v[0:1]
	v_lshl_add_u64 v[0:1], v[2:3], 4, v[0:1]
	s_waitcnt lgkmcnt(0)
	v_mul_f64 v[2:3], v[50:51], v[74:75]
	v_fmac_f64_e32 v[2:3], v[48:49], v[72:73]
	v_mul_f64 v[28:29], v[2:3], s[0:1]
	v_mul_f64 v[2:3], v[50:51], v[72:73]
	v_fma_f64 v[2:3], v[48:49], v[74:75], -v[2:3]
	ds_read_b128 v[48:51], v239 offset:544
	global_store_dwordx4 v[0:1], v[76:79], off
	v_mad_u64_u32 v[0:1], s[2:3], s4, v199, v[0:1]
	s_mul_i32 s2, s5, 0x110
	v_mul_f64 v[30:31], v[2:3], s[0:1]
	v_add_u32_e32 v1, s2, v1
	global_store_dwordx4 v[0:1], v[28:31], off
	ds_read_b128 v[28:31], v239 offset:816
	s_waitcnt lgkmcnt(1)
	v_mul_f64 v[2:3], v[22:23], v[50:51]
	v_fmac_f64_e32 v[2:3], v[20:21], v[48:49]
	v_mul_f64 v[68:69], v[2:3], s[0:1]
	v_mul_f64 v[2:3], v[22:23], v[48:49]
	v_fma_f64 v[2:3], v[20:21], v[50:51], -v[2:3]
	v_mul_f64 v[70:71], v[2:3], s[0:1]
	s_waitcnt lgkmcnt(0)
	v_mul_f64 v[2:3], v[42:43], v[30:31]
	v_fmac_f64_e32 v[2:3], v[40:41], v[28:29]
	v_mul_f64 v[20:21], v[2:3], s[0:1]
	v_mul_f64 v[2:3], v[42:43], v[28:29]
	v_mad_u64_u32 v[0:1], s[6:7], s4, v199, v[0:1]
	v_fma_f64 v[2:3], v[40:41], v[30:31], -v[2:3]
	ds_read_b128 v[28:31], v239 offset:1088
	v_add_u32_e32 v1, s2, v1
	global_store_dwordx4 v[0:1], v[68:71], off
	v_mad_u64_u32 v[0:1], s[6:7], s4, v199, v[0:1]
	v_mul_f64 v[22:23], v[2:3], s[0:1]
	v_add_u32_e32 v1, s2, v1
	global_store_dwordx4 v[0:1], v[20:23], off
	ds_read_b128 v[20:23], v239 offset:1360
	s_waitcnt lgkmcnt(1)
	v_mul_f64 v[2:3], v[18:19], v[30:31]
	v_fmac_f64_e32 v[2:3], v[16:17], v[28:29]
	v_mul_f64 v[40:41], v[2:3], s[0:1]
	v_mul_f64 v[2:3], v[18:19], v[28:29]
	v_fma_f64 v[2:3], v[16:17], v[30:31], -v[2:3]
	v_mul_f64 v[42:43], v[2:3], s[0:1]
	s_waitcnt lgkmcnt(0)
	v_mul_f64 v[2:3], v[26:27], v[22:23]
	v_fmac_f64_e32 v[2:3], v[24:25], v[20:21]
	v_mul_f64 v[16:17], v[2:3], s[0:1]
	v_mul_f64 v[2:3], v[26:27], v[20:21]
	v_mad_u64_u32 v[0:1], s[6:7], s4, v199, v[0:1]
	v_fma_f64 v[2:3], v[24:25], v[22:23], -v[2:3]
	ds_read_b128 v[20:23], v239 offset:1632
	v_add_u32_e32 v1, s2, v1
	global_store_dwordx4 v[0:1], v[40:43], off
	v_mad_u64_u32 v[0:1], s[6:7], s4, v199, v[0:1]
	v_mul_f64 v[18:19], v[2:3], s[0:1]
	v_add_u32_e32 v1, s2, v1
	v_accvgpr_read_b32 v4, a12
	global_store_dwordx4 v[0:1], v[16:19], off
	ds_read_b128 v[16:19], v239 offset:1904
	v_accvgpr_read_b32 v6, a14
	v_accvgpr_read_b32 v7, a15
	;; [unrolled: 1-line block ×3, first 2 shown]
	s_waitcnt lgkmcnt(1)
	v_mul_f64 v[2:3], v[6:7], v[22:23]
	v_fmac_f64_e32 v[2:3], v[4:5], v[20:21]
	v_mul_f64 v[24:25], v[2:3], s[0:1]
	v_mul_f64 v[2:3], v[6:7], v[20:21]
	v_accvgpr_read_b32 v6, a8
	v_fma_f64 v[2:3], v[4:5], v[22:23], -v[2:3]
	v_accvgpr_read_b32 v8, a10
	v_accvgpr_read_b32 v9, a11
	v_mul_f64 v[26:27], v[2:3], s[0:1]
	v_accvgpr_read_b32 v7, a9
	s_waitcnt lgkmcnt(0)
	v_mul_f64 v[2:3], v[8:9], v[18:19]
	v_mad_u64_u32 v[0:1], s[6:7], s4, v199, v[0:1]
	v_fmac_f64_e32 v[2:3], v[6:7], v[16:17]
	ds_read_b128 v[12:15], v239 offset:2176
	v_add_u32_e32 v1, s2, v1
	v_mul_f64 v[4:5], v[2:3], s[0:1]
	v_mul_f64 v[2:3], v[8:9], v[16:17]
	global_store_dwordx4 v[0:1], v[24:27], off
	v_fma_f64 v[2:3], v[6:7], v[18:19], -v[2:3]
	v_mad_u64_u32 v[0:1], s[6:7], s4, v199, v[0:1]
	v_mul_f64 v[6:7], v[2:3], s[0:1]
	v_add_u32_e32 v1, s2, v1
	v_accvgpr_read_b32 v11, a7
	global_store_dwordx4 v[0:1], v[4:7], off
	ds_read_b128 v[4:7], v239 offset:2448
	v_accvgpr_read_b32 v10, a6
	v_accvgpr_read_b32 v9, a5
	;; [unrolled: 1-line block ×3, first 2 shown]
	s_waitcnt lgkmcnt(1)
	v_mul_f64 v[2:3], v[10:11], v[14:15]
	v_fmac_f64_e32 v[2:3], v[8:9], v[12:13]
	v_mul_f64 v[16:17], v[2:3], s[0:1]
	v_mul_f64 v[2:3], v[10:11], v[12:13]
	v_accvgpr_read_b32 v13, a3
	v_fma_f64 v[2:3], v[8:9], v[14:15], -v[2:3]
	v_accvgpr_read_b32 v12, a2
	v_mul_f64 v[18:19], v[2:3], s[0:1]
	v_mad_u64_u32 v[8:9], s[6:7], s4, v199, v[0:1]
	v_accvgpr_read_b32 v11, a1
	v_accvgpr_read_b32 v10, a0
	s_waitcnt lgkmcnt(0)
	v_mul_f64 v[0:1], v[12:13], v[6:7]
	v_mul_f64 v[2:3], v[12:13], v[4:5]
	v_add_u32_e32 v9, s2, v9
	v_fmac_f64_e32 v[0:1], v[10:11], v[4:5]
	v_fma_f64 v[2:3], v[10:11], v[6:7], -v[2:3]
	ds_read_b128 v[4:7], v239 offset:2720
	v_mad_u64_u32 v[12:13], s[6:7], s4, v199, v[8:9]
	v_mul_f64 v[0:1], v[0:1], s[0:1]
	v_mul_f64 v[2:3], v[2:3], s[0:1]
	v_add_u32_e32 v13, s2, v13
	global_store_dwordx4 v[8:9], v[16:19], off
	global_store_dwordx4 v[12:13], v[0:3], off
	ds_read_b128 v[0:3], v239 offset:2992
	s_waitcnt lgkmcnt(1)
	v_mul_f64 v[8:9], v[66:67], v[6:7]
	v_fmac_f64_e32 v[8:9], v[64:65], v[4:5]
	v_mul_f64 v[4:5], v[66:67], v[4:5]
	v_fma_f64 v[4:5], v[64:65], v[6:7], -v[4:5]
	v_mul_f64 v[10:11], v[4:5], s[0:1]
	s_waitcnt lgkmcnt(0)
	v_mul_f64 v[4:5], v[58:59], v[2:3]
	v_fmac_f64_e32 v[4:5], v[56:57], v[0:1]
	v_mul_f64 v[0:1], v[58:59], v[0:1]
	v_mad_u64_u32 v[12:13], s[6:7], s4, v199, v[12:13]
	v_fma_f64 v[0:1], v[56:57], v[2:3], -v[0:1]
	v_mul_f64 v[8:9], v[8:9], s[0:1]
	v_add_u32_e32 v13, s2, v13
	v_mul_f64 v[6:7], v[0:1], s[0:1]
	ds_read_b128 v[0:3], v239 offset:3264
	global_store_dwordx4 v[12:13], v[8:11], off
	v_mad_u64_u32 v[12:13], s[6:7], s4, v199, v[12:13]
	v_mul_f64 v[4:5], v[4:5], s[0:1]
	v_add_u32_e32 v13, s2, v13
	global_store_dwordx4 v[12:13], v[4:7], off
	ds_read_b128 v[4:7], v239 offset:3536
	s_waitcnt lgkmcnt(1)
	v_mul_f64 v[8:9], v[62:63], v[2:3]
	v_fmac_f64_e32 v[8:9], v[60:61], v[0:1]
	v_mul_f64 v[0:1], v[62:63], v[0:1]
	v_fma_f64 v[0:1], v[60:61], v[2:3], -v[0:1]
	v_mul_f64 v[10:11], v[0:1], s[0:1]
	v_mad_u64_u32 v[12:13], s[6:7], s4, v199, v[12:13]
	s_waitcnt lgkmcnt(0)
	v_mul_f64 v[0:1], v[46:47], v[6:7]
	v_mul_f64 v[2:3], v[46:47], v[4:5]
	;; [unrolled: 1-line block ×3, first 2 shown]
	v_add_u32_e32 v13, s2, v13
	v_fmac_f64_e32 v[0:1], v[44:45], v[4:5]
	v_fma_f64 v[2:3], v[44:45], v[6:7], -v[2:3]
	ds_read_b128 v[4:7], v239 offset:3808
	global_store_dwordx4 v[12:13], v[8:11], off
	v_mad_u64_u32 v[12:13], s[6:7], s4, v199, v[12:13]
	v_mul_f64 v[0:1], v[0:1], s[0:1]
	v_mul_f64 v[2:3], v[2:3], s[0:1]
	v_add_u32_e32 v13, s2, v13
	global_store_dwordx4 v[12:13], v[0:3], off
	ds_read_b128 v[0:3], v239 offset:4080
	s_waitcnt lgkmcnt(1)
	v_mul_f64 v[8:9], v[54:55], v[6:7]
	v_fmac_f64_e32 v[8:9], v[52:53], v[4:5]
	v_mul_f64 v[4:5], v[54:55], v[4:5]
	v_fma_f64 v[4:5], v[52:53], v[6:7], -v[4:5]
	v_mul_f64 v[10:11], v[4:5], s[0:1]
	s_waitcnt lgkmcnt(0)
	v_mul_f64 v[4:5], v[34:35], v[2:3]
	v_fmac_f64_e32 v[4:5], v[32:33], v[0:1]
	v_mul_f64 v[0:1], v[34:35], v[0:1]
	v_fma_f64 v[0:1], v[32:33], v[2:3], -v[0:1]
	v_mul_f64 v[6:7], v[0:1], s[0:1]
	ds_read_b128 v[0:3], v239 offset:4352
	v_mad_u64_u32 v[12:13], s[6:7], s4, v199, v[12:13]
	v_mul_f64 v[8:9], v[8:9], s[0:1]
	v_add_u32_e32 v13, s2, v13
	global_store_dwordx4 v[12:13], v[8:11], off
	v_mul_f64 v[4:5], v[4:5], s[0:1]
	s_nop 0
	v_mad_u64_u32 v[8:9], s[6:7], s4, v199, v[12:13]
	v_add_u32_e32 v9, s2, v9
	global_store_dwordx4 v[8:9], v[4:7], off
	s_waitcnt lgkmcnt(0)
	s_nop 0
	v_mul_f64 v[4:5], v[38:39], v[2:3]
	v_fmac_f64_e32 v[4:5], v[36:37], v[0:1]
	v_mul_f64 v[0:1], v[38:39], v[0:1]
	v_fma_f64 v[0:1], v[36:37], v[2:3], -v[0:1]
	v_mul_f64 v[4:5], v[4:5], s[0:1]
	v_mul_f64 v[6:7], v[0:1], s[0:1]
	v_mad_u64_u32 v[0:1], s[0:1], s4, v199, v[8:9]
	v_add_u32_e32 v1, s2, v1
	global_store_dwordx4 v[0:1], v[4:7], off
.LBB0_2:
	s_endpgm
	.section	.rodata,"a",@progbits
	.p2align	6, 0x0
	.amdhsa_kernel bluestein_single_fwd_len289_dim1_dp_op_CI_CI
		.amdhsa_group_segment_fixed_size 32368
		.amdhsa_private_segment_fixed_size 0
		.amdhsa_kernarg_size 104
		.amdhsa_user_sgpr_count 2
		.amdhsa_user_sgpr_dispatch_ptr 0
		.amdhsa_user_sgpr_queue_ptr 0
		.amdhsa_user_sgpr_kernarg_segment_ptr 1
		.amdhsa_user_sgpr_dispatch_id 0
		.amdhsa_user_sgpr_kernarg_preload_length 0
		.amdhsa_user_sgpr_kernarg_preload_offset 0
		.amdhsa_user_sgpr_private_segment_size 0
		.amdhsa_uses_dynamic_stack 0
		.amdhsa_enable_private_segment 0
		.amdhsa_system_sgpr_workgroup_id_x 1
		.amdhsa_system_sgpr_workgroup_id_y 0
		.amdhsa_system_sgpr_workgroup_id_z 0
		.amdhsa_system_sgpr_workgroup_info 0
		.amdhsa_system_vgpr_workitem_id 0
		.amdhsa_next_free_vgpr 272
		.amdhsa_next_free_sgpr 56
		.amdhsa_accum_offset 256
		.amdhsa_reserve_vcc 1
		.amdhsa_float_round_mode_32 0
		.amdhsa_float_round_mode_16_64 0
		.amdhsa_float_denorm_mode_32 3
		.amdhsa_float_denorm_mode_16_64 3
		.amdhsa_dx10_clamp 1
		.amdhsa_ieee_mode 1
		.amdhsa_fp16_overflow 0
		.amdhsa_tg_split 0
		.amdhsa_exception_fp_ieee_invalid_op 0
		.amdhsa_exception_fp_denorm_src 0
		.amdhsa_exception_fp_ieee_div_zero 0
		.amdhsa_exception_fp_ieee_overflow 0
		.amdhsa_exception_fp_ieee_underflow 0
		.amdhsa_exception_fp_ieee_inexact 0
		.amdhsa_exception_int_div_zero 0
	.end_amdhsa_kernel
	.text
.Lfunc_end0:
	.size	bluestein_single_fwd_len289_dim1_dp_op_CI_CI, .Lfunc_end0-bluestein_single_fwd_len289_dim1_dp_op_CI_CI
                                        ; -- End function
	.section	.AMDGPU.csdata,"",@progbits
; Kernel info:
; codeLenInByte = 28336
; NumSgprs: 62
; NumVgprs: 256
; NumAgprs: 16
; TotalNumVgprs: 272
; ScratchSize: 0
; MemoryBound: 0
; FloatMode: 240
; IeeeMode: 1
; LDSByteSize: 32368 bytes/workgroup (compile time only)
; SGPRBlocks: 7
; VGPRBlocks: 33
; NumSGPRsForWavesPerEU: 62
; NumVGPRsForWavesPerEU: 272
; AccumOffset: 256
; Occupancy: 1
; WaveLimiterHint : 1
; COMPUTE_PGM_RSRC2:SCRATCH_EN: 0
; COMPUTE_PGM_RSRC2:USER_SGPR: 2
; COMPUTE_PGM_RSRC2:TRAP_HANDLER: 0
; COMPUTE_PGM_RSRC2:TGID_X_EN: 1
; COMPUTE_PGM_RSRC2:TGID_Y_EN: 0
; COMPUTE_PGM_RSRC2:TGID_Z_EN: 0
; COMPUTE_PGM_RSRC2:TIDIG_COMP_CNT: 0
; COMPUTE_PGM_RSRC3_GFX90A:ACCUM_OFFSET: 63
; COMPUTE_PGM_RSRC3_GFX90A:TG_SPLIT: 0
	.text
	.p2alignl 6, 3212836864
	.fill 256, 4, 3212836864
	.type	__hip_cuid_6faa17331c1dfa6a,@object ; @__hip_cuid_6faa17331c1dfa6a
	.section	.bss,"aw",@nobits
	.globl	__hip_cuid_6faa17331c1dfa6a
__hip_cuid_6faa17331c1dfa6a:
	.byte	0                               ; 0x0
	.size	__hip_cuid_6faa17331c1dfa6a, 1

	.ident	"AMD clang version 19.0.0git (https://github.com/RadeonOpenCompute/llvm-project roc-6.4.0 25133 c7fe45cf4b819c5991fe208aaa96edf142730f1d)"
	.section	".note.GNU-stack","",@progbits
	.addrsig
	.addrsig_sym __hip_cuid_6faa17331c1dfa6a
	.amdgpu_metadata
---
amdhsa.kernels:
  - .agpr_count:     16
    .args:
      - .actual_access:  read_only
        .address_space:  global
        .offset:         0
        .size:           8
        .value_kind:     global_buffer
      - .actual_access:  read_only
        .address_space:  global
        .offset:         8
        .size:           8
        .value_kind:     global_buffer
      - .actual_access:  read_only
        .address_space:  global
        .offset:         16
        .size:           8
        .value_kind:     global_buffer
      - .actual_access:  read_only
        .address_space:  global
        .offset:         24
        .size:           8
        .value_kind:     global_buffer
      - .actual_access:  read_only
        .address_space:  global
        .offset:         32
        .size:           8
        .value_kind:     global_buffer
      - .offset:         40
        .size:           8
        .value_kind:     by_value
      - .address_space:  global
        .offset:         48
        .size:           8
        .value_kind:     global_buffer
      - .address_space:  global
        .offset:         56
        .size:           8
        .value_kind:     global_buffer
      - .address_space:  global
        .offset:         64
        .size:           8
        .value_kind:     global_buffer
      - .address_space:  global
        .offset:         72
        .size:           8
        .value_kind:     global_buffer
      - .offset:         80
        .size:           4
        .value_kind:     by_value
      - .address_space:  global
        .offset:         88
        .size:           8
        .value_kind:     global_buffer
      - .address_space:  global
        .offset:         96
        .size:           8
        .value_kind:     global_buffer
    .group_segment_fixed_size: 32368
    .kernarg_segment_align: 8
    .kernarg_segment_size: 104
    .language:       OpenCL C
    .language_version:
      - 2
      - 0
    .max_flat_workgroup_size: 119
    .name:           bluestein_single_fwd_len289_dim1_dp_op_CI_CI
    .private_segment_fixed_size: 0
    .sgpr_count:     62
    .sgpr_spill_count: 0
    .symbol:         bluestein_single_fwd_len289_dim1_dp_op_CI_CI.kd
    .uniform_work_group_size: 1
    .uses_dynamic_stack: false
    .vgpr_count:     272
    .vgpr_spill_count: 0
    .wavefront_size: 64
amdhsa.target:   amdgcn-amd-amdhsa--gfx950
amdhsa.version:
  - 1
  - 2
...

	.end_amdgpu_metadata
